;; amdgpu-corpus repo=zjin-lcf/HeCBench kind=compiled arch=gfx1250 opt=O3
	.amdgcn_target "amdgcn-amd-amdhsa--gfx1250"
	.amdhsa_code_object_version 6
	.text
	.protected	_Z9ccc_loop1PKiS0_PKdS2_S2_S2_PdiiPi ; -- Begin function _Z9ccc_loop1PKiS0_PKdS2_S2_S2_PdiiPi
	.globl	_Z9ccc_loop1PKiS0_PKdS2_S2_S2_PdiiPi
	.p2align	8
	.type	_Z9ccc_loop1PKiS0_PKdS2_S2_S2_PdiiPi,@function
_Z9ccc_loop1PKiS0_PKdS2_S2_S2_PdiiPi:   ; @_Z9ccc_loop1PKiS0_PKdS2_S2_S2_PdiiPi
; %bb.0:
	s_clause 0x1
	s_load_b32 s2, s[0:1], 0x54
	s_load_b64 s[4:5], s[0:1], 0x38
	s_bfe_u32 s6, ttmp6, 0x4000c
	s_bfe_u32 s7, ttmp6, 0x40010
	s_add_co_i32 s6, s6, 1
	s_add_co_i32 s7, s7, 1
	s_and_b32 s3, ttmp6, 15
	s_bfe_u32 s8, ttmp6, 0x40004
	s_mul_i32 s6, ttmp9, s6
	s_mul_i32 s7, ttmp7, s7
	s_getreg_b32 s9, hwreg(HW_REG_IB_STS2, 6, 4)
	v_and_b32_e32 v1, 0x3ff, v0
	v_bfe_u32 v2, v0, 10, 10
	s_add_co_i32 s3, s3, s6
	s_add_co_i32 s8, s8, s7
	s_wait_kmcnt 0x0
	s_lshr_b32 s6, s2, 16
	s_and_b32 s2, s2, 0xffff
	s_cmp_eq_u32 s9, 0
	s_cselect_b32 s3, ttmp9, s3
	s_cselect_b32 s7, ttmp7, s8
	v_mad_u32 v0, s3, s2, v1
	v_mad_u32 v1, s7, s6, v2
	s_delay_alu instid0(VALU_DEP_2) | instskip(NEXT) | instid1(VALU_DEP_2)
	v_cmp_gt_i32_e32 vcc_lo, s4, v0
	v_cmp_gt_i32_e64 s2, s5, v1
	s_and_b32 s2, vcc_lo, s2
	s_delay_alu instid0(SALU_CYCLE_1)
	s_and_saveexec_b32 s3, s2
	s_cbranch_execz .LBB0_2
; %bb.1:
	s_clause 0x1
	s_load_b64 s[2:3], s[0:1], 0x10
	s_load_b128 s[8:11], s[0:1], 0x28
	v_mad_u32 v12, v1, s4, v0
	s_wait_kmcnt 0x0
	s_clause 0x1
	global_load_b64 v[0:1], v12, s[2:3] scale_offset
	global_load_b64 v[2:3], v12, s[8:9] scale_offset
	s_wait_loadcnt 0x0
	v_div_scale_f64 v[4:5], null, v[2:3], v[2:3], v[0:1]
	s_delay_alu instid0(VALU_DEP_1) | instskip(SKIP_1) | instid1(TRANS32_DEP_1)
	v_rcp_f64_e32 v[6:7], v[4:5]
	v_nop
	v_fma_f64 v[8:9], -v[4:5], v[6:7], 1.0
	s_delay_alu instid0(VALU_DEP_1) | instskip(NEXT) | instid1(VALU_DEP_1)
	v_fmac_f64_e32 v[6:7], v[6:7], v[8:9]
	v_fma_f64 v[8:9], -v[4:5], v[6:7], 1.0
	s_delay_alu instid0(VALU_DEP_1) | instskip(SKIP_1) | instid1(VALU_DEP_1)
	v_fmac_f64_e32 v[6:7], v[6:7], v[8:9]
	v_div_scale_f64 v[8:9], vcc_lo, v[0:1], v[2:3], v[0:1]
	v_mul_f64_e32 v[10:11], v[8:9], v[6:7]
	s_delay_alu instid0(VALU_DEP_1) | instskip(NEXT) | instid1(VALU_DEP_1)
	v_fma_f64 v[4:5], -v[4:5], v[10:11], v[8:9]
	v_div_fmas_f64 v[4:5], v[4:5], v[6:7], v[10:11]
	s_delay_alu instid0(VALU_DEP_1)
	v_div_fixup_f64 v[0:1], v[4:5], v[2:3], v[0:1]
	global_store_b64 v12, v[0:1], s[10:11] scale_offset
.LBB0_2:
	s_endpgm
	.section	.rodata,"a",@progbits
	.p2align	6, 0x0
	.amdhsa_kernel _Z9ccc_loop1PKiS0_PKdS2_S2_S2_PdiiPi
		.amdhsa_group_segment_fixed_size 0
		.amdhsa_private_segment_fixed_size 0
		.amdhsa_kernarg_size 328
		.amdhsa_user_sgpr_count 2
		.amdhsa_user_sgpr_dispatch_ptr 0
		.amdhsa_user_sgpr_queue_ptr 0
		.amdhsa_user_sgpr_kernarg_segment_ptr 1
		.amdhsa_user_sgpr_dispatch_id 0
		.amdhsa_user_sgpr_kernarg_preload_length 0
		.amdhsa_user_sgpr_kernarg_preload_offset 0
		.amdhsa_user_sgpr_private_segment_size 0
		.amdhsa_wavefront_size32 1
		.amdhsa_uses_dynamic_stack 0
		.amdhsa_enable_private_segment 0
		.amdhsa_system_sgpr_workgroup_id_x 1
		.amdhsa_system_sgpr_workgroup_id_y 1
		.amdhsa_system_sgpr_workgroup_id_z 0
		.amdhsa_system_sgpr_workgroup_info 0
		.amdhsa_system_vgpr_workitem_id 1
		.amdhsa_next_free_vgpr 13
		.amdhsa_next_free_sgpr 12
		.amdhsa_named_barrier_count 0
		.amdhsa_reserve_vcc 1
		.amdhsa_float_round_mode_32 0
		.amdhsa_float_round_mode_16_64 0
		.amdhsa_float_denorm_mode_32 3
		.amdhsa_float_denorm_mode_16_64 3
		.amdhsa_fp16_overflow 0
		.amdhsa_memory_ordered 1
		.amdhsa_forward_progress 1
		.amdhsa_inst_pref_size 3
		.amdhsa_round_robin_scheduling 0
		.amdhsa_exception_fp_ieee_invalid_op 0
		.amdhsa_exception_fp_denorm_src 0
		.amdhsa_exception_fp_ieee_div_zero 0
		.amdhsa_exception_fp_ieee_overflow 0
		.amdhsa_exception_fp_ieee_underflow 0
		.amdhsa_exception_fp_ieee_inexact 0
		.amdhsa_exception_int_div_zero 0
	.end_amdhsa_kernel
	.text
.Lfunc_end0:
	.size	_Z9ccc_loop1PKiS0_PKdS2_S2_S2_PdiiPi, .Lfunc_end0-_Z9ccc_loop1PKiS0_PKdS2_S2_S2_PdiiPi
                                        ; -- End function
	.set _Z9ccc_loop1PKiS0_PKdS2_S2_S2_PdiiPi.num_vgpr, 13
	.set _Z9ccc_loop1PKiS0_PKdS2_S2_S2_PdiiPi.num_agpr, 0
	.set _Z9ccc_loop1PKiS0_PKdS2_S2_S2_PdiiPi.numbered_sgpr, 12
	.set _Z9ccc_loop1PKiS0_PKdS2_S2_S2_PdiiPi.num_named_barrier, 0
	.set _Z9ccc_loop1PKiS0_PKdS2_S2_S2_PdiiPi.private_seg_size, 0
	.set _Z9ccc_loop1PKiS0_PKdS2_S2_S2_PdiiPi.uses_vcc, 1
	.set _Z9ccc_loop1PKiS0_PKdS2_S2_S2_PdiiPi.uses_flat_scratch, 0
	.set _Z9ccc_loop1PKiS0_PKdS2_S2_S2_PdiiPi.has_dyn_sized_stack, 0
	.set _Z9ccc_loop1PKiS0_PKdS2_S2_S2_PdiiPi.has_recursion, 0
	.set _Z9ccc_loop1PKiS0_PKdS2_S2_S2_PdiiPi.has_indirect_call, 0
	.section	.AMDGPU.csdata,"",@progbits
; Kernel info:
; codeLenInByte = 344
; TotalNumSgprs: 14
; NumVgprs: 13
; ScratchSize: 0
; MemoryBound: 0
; FloatMode: 240
; IeeeMode: 1
; LDSByteSize: 0 bytes/workgroup (compile time only)
; SGPRBlocks: 0
; VGPRBlocks: 0
; NumSGPRsForWavesPerEU: 14
; NumVGPRsForWavesPerEU: 13
; NamedBarCnt: 0
; Occupancy: 16
; WaveLimiterHint : 0
; COMPUTE_PGM_RSRC2:SCRATCH_EN: 0
; COMPUTE_PGM_RSRC2:USER_SGPR: 2
; COMPUTE_PGM_RSRC2:TRAP_HANDLER: 0
; COMPUTE_PGM_RSRC2:TGID_X_EN: 1
; COMPUTE_PGM_RSRC2:TGID_Y_EN: 1
; COMPUTE_PGM_RSRC2:TGID_Z_EN: 0
; COMPUTE_PGM_RSRC2:TIDIG_COMP_CNT: 1
	.text
	.protected	_Z11ccc_loop1_2PKdS0_S0_PdPKiiS3_S3_ii ; -- Begin function _Z11ccc_loop1_2PKdS0_S0_PdPKiiS3_S3_ii
	.globl	_Z11ccc_loop1_2PKdS0_S0_PdPKiiS3_S3_ii
	.p2align	8
	.type	_Z11ccc_loop1_2PKdS0_S0_PdPKiiS3_S3_ii,@function
_Z11ccc_loop1_2PKdS0_S0_PdPKiiS3_S3_ii: ; @_Z11ccc_loop1_2PKdS0_S0_PdPKiiS3_S3_ii
; %bb.0:
	s_clause 0x1
	s_load_b32 s2, s[0:1], 0x54
	s_load_b32 s3, s[0:1], 0x28
	s_bfe_u32 s4, ttmp6, 0x4000c
	s_and_b32 s5, ttmp6, 15
	s_add_co_i32 s4, s4, 1
	s_getreg_b32 s6, hwreg(HW_REG_IB_STS2, 6, 4)
	s_mul_i32 s4, ttmp9, s4
	s_delay_alu instid0(SALU_CYCLE_1) | instskip(SKIP_4) | instid1(SALU_CYCLE_1)
	s_add_co_i32 s5, s5, s4
	s_wait_kmcnt 0x0
	s_and_b32 s2, s2, 0xffff
	s_cmp_eq_u32 s6, 0
	s_cselect_b32 s4, ttmp9, s5
	v_mad_u32 v0, s4, s2, v0
	s_mov_b32 s2, exec_lo
	s_delay_alu instid0(VALU_DEP_1)
	v_cmpx_gt_i32_e64 s3, v0
	s_cbranch_execz .LBB1_6
; %bb.1:
	s_clause 0x1
	s_load_b64 s[2:3], s[0:1], 0x20
	s_load_b128 s[4:7], s[0:1], 0x10
	v_ashrrev_i32_e32 v1, 31, v0
	s_wait_kmcnt 0x0
	s_delay_alu instid0(VALU_DEP_1)
	v_lshl_add_u64 v[2:3], v[0:1], 2, s[2:3]
	s_mov_b32 s2, exec_lo
	global_load_b64 v[4:5], v[2:3], off
	s_wait_xcnt 0x0
	v_mov_b64_e32 v[2:3], 0
	s_wait_loadcnt 0x0
	v_cmpx_lt_i32_e64 v4, v5
	s_cbranch_execz .LBB1_5
; %bb.2:
	s_load_b128 s[8:11], s[0:1], 0x0
	v_dual_mov_b32 v2, v4 :: v_dual_ashrrev_i32 v3, 31, v4
	s_mov_b32 s3, 0
	s_delay_alu instid0(VALU_DEP_1) | instskip(SKIP_1) | instid1(VALU_DEP_1)
	v_lshlrev_b64_e32 v[2:3], 3, v[2:3]
	s_wait_kmcnt 0x0
	v_add_nc_u64_e32 v[6:7], s[8:9], v[2:3]
	v_add_nc_u64_e32 v[8:9], s[10:11], v[2:3]
	v_mov_b64_e32 v[2:3], 0
.LBB1_3:                                ; =>This Inner Loop Header: Depth=1
	global_load_b64 v[10:11], v[6:7], off
	global_load_b64 v[12:13], v[8:9], off
	v_add_nc_u32_e32 v4, 1, v4
	s_wait_xcnt 0x1
	v_add_nc_u64_e32 v[6:7], 8, v[6:7]
	s_wait_xcnt 0x0
	v_add_nc_u64_e32 v[8:9], 8, v[8:9]
	v_cmp_ge_i32_e32 vcc_lo, v4, v5
	s_or_b32 s3, vcc_lo, s3
	s_wait_loadcnt 0x0
	v_fmac_f64_e32 v[2:3], v[10:11], v[12:13]
	s_and_not1_b32 exec_lo, exec_lo, s3
	s_cbranch_execnz .LBB1_3
; %bb.4:
	s_or_b32 exec_lo, exec_lo, s3
.LBB1_5:
	s_delay_alu instid0(SALU_CYCLE_1)
	s_or_b32 exec_lo, exec_lo, s2
	s_load_b128 s[8:11], s[0:1], 0x30
	v_lshlrev_b64_e32 v[0:1], 2, v[0:1]
	s_wait_xcnt 0x0
	s_load_b32 s0, s[0:1], 0x40
	s_wait_kmcnt 0x0
	s_delay_alu instid0(VALU_DEP_1)
	v_add_nc_u64_e32 v[4:5], s[8:9], v[0:1]
	v_add_nc_u64_e32 v[0:1], s[10:11], v[0:1]
	global_load_b32 v6, v[4:5], off
	global_load_b32 v7, v[0:1], off
	s_wait_loadcnt 0x0
	v_mad_u32 v12, v7, s0, v6
	global_load_b64 v[0:1], v12, s[4:5] scale_offset
	s_wait_loadcnt 0x0
	v_div_scale_f64 v[4:5], null, v[0:1], v[0:1], v[2:3]
	s_delay_alu instid0(VALU_DEP_1) | instskip(SKIP_1) | instid1(TRANS32_DEP_1)
	v_rcp_f64_e32 v[6:7], v[4:5]
	v_nop
	v_fma_f64 v[8:9], -v[4:5], v[6:7], 1.0
	s_delay_alu instid0(VALU_DEP_1) | instskip(NEXT) | instid1(VALU_DEP_1)
	v_fmac_f64_e32 v[6:7], v[6:7], v[8:9]
	v_fma_f64 v[8:9], -v[4:5], v[6:7], 1.0
	s_delay_alu instid0(VALU_DEP_1) | instskip(SKIP_1) | instid1(VALU_DEP_1)
	v_fmac_f64_e32 v[6:7], v[6:7], v[8:9]
	v_div_scale_f64 v[8:9], vcc_lo, v[2:3], v[0:1], v[2:3]
	v_mul_f64_e32 v[10:11], v[8:9], v[6:7]
	s_delay_alu instid0(VALU_DEP_1) | instskip(NEXT) | instid1(VALU_DEP_1)
	v_fma_f64 v[4:5], -v[4:5], v[10:11], v[8:9]
	v_div_fmas_f64 v[4:5], v[4:5], v[6:7], v[10:11]
	s_delay_alu instid0(VALU_DEP_1)
	v_div_fixup_f64 v[0:1], v[4:5], v[0:1], v[2:3]
	global_store_b64 v12, v[0:1], s[6:7] scale_offset
.LBB1_6:
	s_endpgm
	.section	.rodata,"a",@progbits
	.p2align	6, 0x0
	.amdhsa_kernel _Z11ccc_loop1_2PKdS0_S0_PdPKiiS3_S3_ii
		.amdhsa_group_segment_fixed_size 0
		.amdhsa_private_segment_fixed_size 0
		.amdhsa_kernarg_size 328
		.amdhsa_user_sgpr_count 2
		.amdhsa_user_sgpr_dispatch_ptr 0
		.amdhsa_user_sgpr_queue_ptr 0
		.amdhsa_user_sgpr_kernarg_segment_ptr 1
		.amdhsa_user_sgpr_dispatch_id 0
		.amdhsa_user_sgpr_kernarg_preload_length 0
		.amdhsa_user_sgpr_kernarg_preload_offset 0
		.amdhsa_user_sgpr_private_segment_size 0
		.amdhsa_wavefront_size32 1
		.amdhsa_uses_dynamic_stack 0
		.amdhsa_enable_private_segment 0
		.amdhsa_system_sgpr_workgroup_id_x 1
		.amdhsa_system_sgpr_workgroup_id_y 0
		.amdhsa_system_sgpr_workgroup_id_z 0
		.amdhsa_system_sgpr_workgroup_info 0
		.amdhsa_system_vgpr_workitem_id 0
		.amdhsa_next_free_vgpr 14
		.amdhsa_next_free_sgpr 12
		.amdhsa_named_barrier_count 0
		.amdhsa_reserve_vcc 1
		.amdhsa_float_round_mode_32 0
		.amdhsa_float_round_mode_16_64 0
		.amdhsa_float_denorm_mode_32 3
		.amdhsa_float_denorm_mode_16_64 3
		.amdhsa_fp16_overflow 0
		.amdhsa_memory_ordered 1
		.amdhsa_forward_progress 1
		.amdhsa_inst_pref_size 4
		.amdhsa_round_robin_scheduling 0
		.amdhsa_exception_fp_ieee_invalid_op 0
		.amdhsa_exception_fp_denorm_src 0
		.amdhsa_exception_fp_ieee_div_zero 0
		.amdhsa_exception_fp_ieee_overflow 0
		.amdhsa_exception_fp_ieee_underflow 0
		.amdhsa_exception_fp_ieee_inexact 0
		.amdhsa_exception_int_div_zero 0
	.end_amdhsa_kernel
	.text
.Lfunc_end1:
	.size	_Z11ccc_loop1_2PKdS0_S0_PdPKiiS3_S3_ii, .Lfunc_end1-_Z11ccc_loop1_2PKdS0_S0_PdPKiiS3_S3_ii
                                        ; -- End function
	.set _Z11ccc_loop1_2PKdS0_S0_PdPKiiS3_S3_ii.num_vgpr, 14
	.set _Z11ccc_loop1_2PKdS0_S0_PdPKiiS3_S3_ii.num_agpr, 0
	.set _Z11ccc_loop1_2PKdS0_S0_PdPKiiS3_S3_ii.numbered_sgpr, 12
	.set _Z11ccc_loop1_2PKdS0_S0_PdPKiiS3_S3_ii.num_named_barrier, 0
	.set _Z11ccc_loop1_2PKdS0_S0_PdPKiiS3_S3_ii.private_seg_size, 0
	.set _Z11ccc_loop1_2PKdS0_S0_PdPKiiS3_S3_ii.uses_vcc, 1
	.set _Z11ccc_loop1_2PKdS0_S0_PdPKiiS3_S3_ii.uses_flat_scratch, 0
	.set _Z11ccc_loop1_2PKdS0_S0_PdPKiiS3_S3_ii.has_dyn_sized_stack, 0
	.set _Z11ccc_loop1_2PKdS0_S0_PdPKiiS3_S3_ii.has_recursion, 0
	.set _Z11ccc_loop1_2PKdS0_S0_PdPKiiS3_S3_ii.has_indirect_call, 0
	.section	.AMDGPU.csdata,"",@progbits
; Kernel info:
; codeLenInByte = 508
; TotalNumSgprs: 14
; NumVgprs: 14
; ScratchSize: 0
; MemoryBound: 0
; FloatMode: 240
; IeeeMode: 1
; LDSByteSize: 0 bytes/workgroup (compile time only)
; SGPRBlocks: 0
; VGPRBlocks: 0
; NumSGPRsForWavesPerEU: 14
; NumVGPRsForWavesPerEU: 14
; NamedBarCnt: 0
; Occupancy: 16
; WaveLimiterHint : 1
; COMPUTE_PGM_RSRC2:SCRATCH_EN: 0
; COMPUTE_PGM_RSRC2:USER_SGPR: 2
; COMPUTE_PGM_RSRC2:TRAP_HANDLER: 0
; COMPUTE_PGM_RSRC2:TGID_X_EN: 1
; COMPUTE_PGM_RSRC2:TGID_Y_EN: 0
; COMPUTE_PGM_RSRC2:TGID_Z_EN: 0
; COMPUTE_PGM_RSRC2:TIDIG_COMP_CNT: 0
	.text
	.protected	_Z9ccc_loop2PKiS0_S0_PKdS2_S2_S2_S2_S2_PdS3_iiPi ; -- Begin function _Z9ccc_loop2PKiS0_S0_PKdS2_S2_S2_S2_S2_PdS3_iiPi
	.globl	_Z9ccc_loop2PKiS0_S0_PKdS2_S2_S2_S2_S2_PdS3_iiPi
	.p2align	8
	.type	_Z9ccc_loop2PKiS0_S0_PKdS2_S2_S2_S2_S2_PdS3_iiPi,@function
_Z9ccc_loop2PKiS0_S0_PKdS2_S2_S2_S2_S2_PdS3_iiPi: ; @_Z9ccc_loop2PKiS0_S0_PKdS2_S2_S2_S2_S2_PdS3_iiPi
; %bb.0:
	s_clause 0x1
	s_load_b32 s2, s[0:1], 0x74
	s_load_b64 s[4:5], s[0:1], 0x58
	s_bfe_u32 s6, ttmp6, 0x4000c
	s_bfe_u32 s7, ttmp6, 0x40010
	s_add_co_i32 s6, s6, 1
	s_add_co_i32 s7, s7, 1
	s_and_b32 s3, ttmp6, 15
	s_bfe_u32 s8, ttmp6, 0x40004
	s_mul_i32 s6, ttmp9, s6
	s_mul_i32 s7, ttmp7, s7
	s_getreg_b32 s9, hwreg(HW_REG_IB_STS2, 6, 4)
	v_and_b32_e32 v1, 0x3ff, v0
	v_bfe_u32 v2, v0, 10, 10
	s_add_co_i32 s3, s3, s6
	s_add_co_i32 s8, s8, s7
	s_wait_kmcnt 0x0
	s_lshr_b32 s6, s2, 16
	s_and_b32 s2, s2, 0xffff
	s_cmp_eq_u32 s9, 0
	s_cselect_b32 s3, ttmp9, s3
	s_cselect_b32 s7, ttmp7, s8
	v_mad_u32 v0, s3, s2, v1
	v_mad_u32 v1, s7, s6, v2
	s_delay_alu instid0(VALU_DEP_2) | instskip(NEXT) | instid1(VALU_DEP_2)
	v_cmp_gt_i32_e32 vcc_lo, s4, v0
	v_cmp_gt_i32_e64 s2, s5, v1
	s_and_b32 s2, vcc_lo, s2
	s_delay_alu instid0(SALU_CYCLE_1)
	s_and_saveexec_b32 s3, s2
	s_cbranch_execz .LBB2_3
; %bb.1:
	s_load_b64 s[2:3], s[0:1], 0x0
	v_mad_u32 v0, v1, s4, v0
	s_wait_kmcnt 0x0
	global_load_b32 v2, v0, s[2:3] scale_offset
	s_wait_loadcnt 0x0
	v_cmp_lt_i32_e32 vcc_lo, 0, v2
	s_and_b32 exec_lo, exec_lo, vcc_lo
	s_cbranch_execz .LBB2_3
; %bb.2:
	s_clause 0x1
	s_load_b64 s[2:3], s[0:1], 0x18
	s_load_b128 s[4:7], s[0:1], 0x40
	v_ashrrev_i32_e32 v1, 31, v0
	s_wait_xcnt 0x0
	s_load_b64 s[0:1], s[0:1], 0x28
	s_delay_alu instid0(VALU_DEP_1) | instskip(SKIP_1) | instid1(VALU_DEP_1)
	v_lshlrev_b64_e32 v[0:1], 3, v[0:1]
	s_wait_kmcnt 0x0
	v_add_nc_u64_e32 v[4:5], s[2:3], v[0:1]
	global_load_b64 v[6:7], v2, s[4:5] offset:-8 scale_offset
	global_load_b64 v[8:9], v[4:5], off
	s_wait_xcnt 0x1
	v_add_nc_u64_e32 v[2:3], s[0:1], v[0:1]
	v_add_nc_u64_e32 v[0:1], s[6:7], v[0:1]
	global_load_b64 v[2:3], v[2:3], off
	s_wait_loadcnt 0x1
	s_wait_xcnt 0x1
	v_mul_f64_e32 v[4:5], v[6:7], v[8:9]
	s_wait_loadcnt 0x0
	s_delay_alu instid0(VALU_DEP_1)
	v_mul_f64_e32 v[2:3], v[4:5], v[2:3]
	global_store_b64 v[0:1], v[2:3], off
.LBB2_3:
	s_endpgm
	.section	.rodata,"a",@progbits
	.p2align	6, 0x0
	.amdhsa_kernel _Z9ccc_loop2PKiS0_S0_PKdS2_S2_S2_S2_S2_PdS3_iiPi
		.amdhsa_group_segment_fixed_size 0
		.amdhsa_private_segment_fixed_size 0
		.amdhsa_kernarg_size 360
		.amdhsa_user_sgpr_count 2
		.amdhsa_user_sgpr_dispatch_ptr 0
		.amdhsa_user_sgpr_queue_ptr 0
		.amdhsa_user_sgpr_kernarg_segment_ptr 1
		.amdhsa_user_sgpr_dispatch_id 0
		.amdhsa_user_sgpr_kernarg_preload_length 0
		.amdhsa_user_sgpr_kernarg_preload_offset 0
		.amdhsa_user_sgpr_private_segment_size 0
		.amdhsa_wavefront_size32 1
		.amdhsa_uses_dynamic_stack 0
		.amdhsa_enable_private_segment 0
		.amdhsa_system_sgpr_workgroup_id_x 1
		.amdhsa_system_sgpr_workgroup_id_y 1
		.amdhsa_system_sgpr_workgroup_id_z 0
		.amdhsa_system_sgpr_workgroup_info 0
		.amdhsa_system_vgpr_workitem_id 1
		.amdhsa_next_free_vgpr 10
		.amdhsa_next_free_sgpr 10
		.amdhsa_named_barrier_count 0
		.amdhsa_reserve_vcc 1
		.amdhsa_float_round_mode_32 0
		.amdhsa_float_round_mode_16_64 0
		.amdhsa_float_denorm_mode_32 3
		.amdhsa_float_denorm_mode_16_64 3
		.amdhsa_fp16_overflow 0
		.amdhsa_memory_ordered 1
		.amdhsa_forward_progress 1
		.amdhsa_inst_pref_size 3
		.amdhsa_round_robin_scheduling 0
		.amdhsa_exception_fp_ieee_invalid_op 0
		.amdhsa_exception_fp_denorm_src 0
		.amdhsa_exception_fp_ieee_div_zero 0
		.amdhsa_exception_fp_ieee_overflow 0
		.amdhsa_exception_fp_ieee_underflow 0
		.amdhsa_exception_fp_ieee_inexact 0
		.amdhsa_exception_int_div_zero 0
	.end_amdhsa_kernel
	.text
.Lfunc_end2:
	.size	_Z9ccc_loop2PKiS0_S0_PKdS2_S2_S2_S2_S2_PdS3_iiPi, .Lfunc_end2-_Z9ccc_loop2PKiS0_S0_PKdS2_S2_S2_S2_S2_PdS3_iiPi
                                        ; -- End function
	.set _Z9ccc_loop2PKiS0_S0_PKdS2_S2_S2_S2_S2_PdS3_iiPi.num_vgpr, 10
	.set _Z9ccc_loop2PKiS0_S0_PKdS2_S2_S2_S2_S2_PdS3_iiPi.num_agpr, 0
	.set _Z9ccc_loop2PKiS0_S0_PKdS2_S2_S2_S2_S2_PdS3_iiPi.numbered_sgpr, 10
	.set _Z9ccc_loop2PKiS0_S0_PKdS2_S2_S2_S2_S2_PdS3_iiPi.num_named_barrier, 0
	.set _Z9ccc_loop2PKiS0_S0_PKdS2_S2_S2_S2_S2_PdS3_iiPi.private_seg_size, 0
	.set _Z9ccc_loop2PKiS0_S0_PKdS2_S2_S2_S2_S2_PdS3_iiPi.uses_vcc, 1
	.set _Z9ccc_loop2PKiS0_S0_PKdS2_S2_S2_S2_S2_PdS3_iiPi.uses_flat_scratch, 0
	.set _Z9ccc_loop2PKiS0_S0_PKdS2_S2_S2_S2_S2_PdS3_iiPi.has_dyn_sized_stack, 0
	.set _Z9ccc_loop2PKiS0_S0_PKdS2_S2_S2_S2_S2_PdS3_iiPi.has_recursion, 0
	.set _Z9ccc_loop2PKiS0_S0_PKdS2_S2_S2_S2_S2_PdS3_iiPi.has_indirect_call, 0
	.section	.AMDGPU.csdata,"",@progbits
; Kernel info:
; codeLenInByte = 356
; TotalNumSgprs: 12
; NumVgprs: 10
; ScratchSize: 0
; MemoryBound: 0
; FloatMode: 240
; IeeeMode: 1
; LDSByteSize: 0 bytes/workgroup (compile time only)
; SGPRBlocks: 0
; VGPRBlocks: 0
; NumSGPRsForWavesPerEU: 12
; NumVGPRsForWavesPerEU: 10
; NamedBarCnt: 0
; Occupancy: 16
; WaveLimiterHint : 1
; COMPUTE_PGM_RSRC2:SCRATCH_EN: 0
; COMPUTE_PGM_RSRC2:USER_SGPR: 2
; COMPUTE_PGM_RSRC2:TRAP_HANDLER: 0
; COMPUTE_PGM_RSRC2:TGID_X_EN: 1
; COMPUTE_PGM_RSRC2:TGID_Y_EN: 1
; COMPUTE_PGM_RSRC2:TGID_Z_EN: 0
; COMPUTE_PGM_RSRC2:TIDIG_COMP_CNT: 1
	.text
	.protected	_Z11ccc_loop2_2PKiPKdS2_S2_S2_PdPii ; -- Begin function _Z11ccc_loop2_2PKiPKdS2_S2_S2_PdPii
	.globl	_Z11ccc_loop2_2PKiPKdS2_S2_S2_PdPii
	.p2align	8
	.type	_Z11ccc_loop2_2PKiPKdS2_S2_S2_PdPii,@function
_Z11ccc_loop2_2PKiPKdS2_S2_S2_PdPii:    ; @_Z11ccc_loop2_2PKiPKdS2_S2_S2_PdPii
; %bb.0:
	s_clause 0x1
	s_load_b32 s2, s[0:1], 0x4c
	s_load_b32 s3, s[0:1], 0x38
	s_bfe_u32 s4, ttmp6, 0x4000c
	s_and_b32 s5, ttmp6, 15
	s_add_co_i32 s4, s4, 1
	s_getreg_b32 s6, hwreg(HW_REG_IB_STS2, 6, 4)
	s_mul_i32 s4, ttmp9, s4
	s_delay_alu instid0(SALU_CYCLE_1) | instskip(SKIP_4) | instid1(SALU_CYCLE_1)
	s_add_co_i32 s5, s5, s4
	s_wait_kmcnt 0x0
	s_and_b32 s2, s2, 0xffff
	s_cmp_eq_u32 s6, 0
	s_cselect_b32 s4, ttmp9, s5
	v_mad_u32 v0, s4, s2, v0
	s_mov_b32 s2, exec_lo
	s_delay_alu instid0(VALU_DEP_1)
	v_cmpx_gt_i32_e64 s3, v0
	s_cbranch_execz .LBB3_2
; %bb.1:
	s_load_b256 s[4:11], s[0:1], 0x0
	s_wait_kmcnt 0x0
	global_load_b32 v1, v0, s[4:5] scale_offset
	s_load_b128 s[0:3], s[0:1], 0x20
	s_clause 0x2
	global_load_b64 v[2:3], v0, s[6:7] scale_offset
	global_load_b64 v[4:5], v0, s[8:9] scale_offset
	;; [unrolled: 1-line block ×3, first 2 shown]
	s_wait_loadcnt 0x3
	s_wait_kmcnt 0x0
	global_load_b64 v[8:9], v1, s[0:1] scale_offset
	s_wait_loadcnt 0x0
	v_mul_f64_e32 v[2:3], v[8:9], v[2:3]
	s_delay_alu instid0(VALU_DEP_1) | instskip(NEXT) | instid1(VALU_DEP_1)
	v_mul_f64_e32 v[2:3], v[2:3], v[4:5]
	v_div_scale_f64 v[4:5], null, v[6:7], v[6:7], v[2:3]
	s_delay_alu instid0(VALU_DEP_1) | instskip(SKIP_1) | instid1(TRANS32_DEP_1)
	v_rcp_f64_e32 v[8:9], v[4:5]
	v_nop
	v_fma_f64 v[10:11], -v[4:5], v[8:9], 1.0
	s_delay_alu instid0(VALU_DEP_1) | instskip(NEXT) | instid1(VALU_DEP_1)
	v_fmac_f64_e32 v[8:9], v[8:9], v[10:11]
	v_fma_f64 v[10:11], -v[4:5], v[8:9], 1.0
	s_delay_alu instid0(VALU_DEP_1) | instskip(SKIP_1) | instid1(VALU_DEP_1)
	v_fmac_f64_e32 v[8:9], v[8:9], v[10:11]
	v_div_scale_f64 v[10:11], vcc_lo, v[2:3], v[6:7], v[2:3]
	v_mul_f64_e32 v[12:13], v[10:11], v[8:9]
	s_delay_alu instid0(VALU_DEP_1) | instskip(NEXT) | instid1(VALU_DEP_1)
	v_fma_f64 v[4:5], -v[4:5], v[12:13], v[10:11]
	v_div_fmas_f64 v[4:5], v[4:5], v[8:9], v[12:13]
	s_delay_alu instid0(VALU_DEP_1)
	v_div_fixup_f64 v[2:3], v[4:5], v[6:7], v[2:3]
	global_store_b64 v0, v[2:3], s[2:3] scale_offset
.LBB3_2:
	s_endpgm
	.section	.rodata,"a",@progbits
	.p2align	6, 0x0
	.amdhsa_kernel _Z11ccc_loop2_2PKiPKdS2_S2_S2_PdPii
		.amdhsa_group_segment_fixed_size 0
		.amdhsa_private_segment_fixed_size 0
		.amdhsa_kernarg_size 320
		.amdhsa_user_sgpr_count 2
		.amdhsa_user_sgpr_dispatch_ptr 0
		.amdhsa_user_sgpr_queue_ptr 0
		.amdhsa_user_sgpr_kernarg_segment_ptr 1
		.amdhsa_user_sgpr_dispatch_id 0
		.amdhsa_user_sgpr_kernarg_preload_length 0
		.amdhsa_user_sgpr_kernarg_preload_offset 0
		.amdhsa_user_sgpr_private_segment_size 0
		.amdhsa_wavefront_size32 1
		.amdhsa_uses_dynamic_stack 0
		.amdhsa_enable_private_segment 0
		.amdhsa_system_sgpr_workgroup_id_x 1
		.amdhsa_system_sgpr_workgroup_id_y 0
		.amdhsa_system_sgpr_workgroup_id_z 0
		.amdhsa_system_sgpr_workgroup_info 0
		.amdhsa_system_vgpr_workitem_id 0
		.amdhsa_next_free_vgpr 14
		.amdhsa_next_free_sgpr 12
		.amdhsa_named_barrier_count 0
		.amdhsa_reserve_vcc 1
		.amdhsa_float_round_mode_32 0
		.amdhsa_float_round_mode_16_64 0
		.amdhsa_float_denorm_mode_32 3
		.amdhsa_float_denorm_mode_16_64 3
		.amdhsa_fp16_overflow 0
		.amdhsa_memory_ordered 1
		.amdhsa_forward_progress 1
		.amdhsa_inst_pref_size 3
		.amdhsa_round_robin_scheduling 0
		.amdhsa_exception_fp_ieee_invalid_op 0
		.amdhsa_exception_fp_denorm_src 0
		.amdhsa_exception_fp_ieee_div_zero 0
		.amdhsa_exception_fp_ieee_overflow 0
		.amdhsa_exception_fp_ieee_underflow 0
		.amdhsa_exception_fp_ieee_inexact 0
		.amdhsa_exception_int_div_zero 0
	.end_amdhsa_kernel
	.text
.Lfunc_end3:
	.size	_Z11ccc_loop2_2PKiPKdS2_S2_S2_PdPii, .Lfunc_end3-_Z11ccc_loop2_2PKiPKdS2_S2_S2_PdPii
                                        ; -- End function
	.set _Z11ccc_loop2_2PKiPKdS2_S2_S2_PdPii.num_vgpr, 14
	.set _Z11ccc_loop2_2PKiPKdS2_S2_S2_PdPii.num_agpr, 0
	.set _Z11ccc_loop2_2PKiPKdS2_S2_S2_PdPii.numbered_sgpr, 12
	.set _Z11ccc_loop2_2PKiPKdS2_S2_S2_PdPii.num_named_barrier, 0
	.set _Z11ccc_loop2_2PKiPKdS2_S2_S2_PdPii.private_seg_size, 0
	.set _Z11ccc_loop2_2PKiPKdS2_S2_S2_PdPii.uses_vcc, 1
	.set _Z11ccc_loop2_2PKiPKdS2_S2_S2_PdPii.uses_flat_scratch, 0
	.set _Z11ccc_loop2_2PKiPKdS2_S2_S2_PdPii.has_dyn_sized_stack, 0
	.set _Z11ccc_loop2_2PKiPKdS2_S2_S2_PdPii.has_recursion, 0
	.set _Z11ccc_loop2_2PKiPKdS2_S2_S2_PdPii.has_indirect_call, 0
	.section	.AMDGPU.csdata,"",@progbits
; Kernel info:
; codeLenInByte = 320
; TotalNumSgprs: 14
; NumVgprs: 14
; ScratchSize: 0
; MemoryBound: 0
; FloatMode: 240
; IeeeMode: 1
; LDSByteSize: 0 bytes/workgroup (compile time only)
; SGPRBlocks: 0
; VGPRBlocks: 0
; NumSGPRsForWavesPerEU: 14
; NumVGPRsForWavesPerEU: 14
; NamedBarCnt: 0
; Occupancy: 16
; WaveLimiterHint : 1
; COMPUTE_PGM_RSRC2:SCRATCH_EN: 0
; COMPUTE_PGM_RSRC2:USER_SGPR: 2
; COMPUTE_PGM_RSRC2:TRAP_HANDLER: 0
; COMPUTE_PGM_RSRC2:TGID_X_EN: 1
; COMPUTE_PGM_RSRC2:TGID_Y_EN: 0
; COMPUTE_PGM_RSRC2:TGID_Z_EN: 0
; COMPUTE_PGM_RSRC2:TIDIG_COMP_CNT: 0
	.text
	.protected	_Z9ccc_loop3PKiS0_S0_PKdS2_PdS3_S2_S2_iiPi ; -- Begin function _Z9ccc_loop3PKiS0_S0_PKdS2_PdS3_S2_S2_iiPi
	.globl	_Z9ccc_loop3PKiS0_S0_PKdS2_PdS3_S2_S2_iiPi
	.p2align	8
	.type	_Z9ccc_loop3PKiS0_S0_PKdS2_PdS3_S2_S2_iiPi,@function
_Z9ccc_loop3PKiS0_S0_PKdS2_PdS3_S2_S2_iiPi: ; @_Z9ccc_loop3PKiS0_S0_PKdS2_PdS3_S2_S2_iiPi
; %bb.0:
	s_clause 0x1
	s_load_b32 s2, s[0:1], 0x64
	s_load_b64 s[8:9], s[0:1], 0x48
	s_bfe_u32 s3, ttmp6, 0x4000c
	s_and_b32 s4, ttmp6, 15
	s_add_co_i32 s3, s3, 1
	v_and_b32_e32 v1, 0x3ff, v0
	s_mul_i32 s5, ttmp9, s3
	s_getreg_b32 s3, hwreg(HW_REG_IB_STS2, 6, 4)
	s_add_co_i32 s4, s4, s5
	s_wait_kmcnt 0x0
	s_and_b32 s5, s2, 0xffff
	s_cmp_eq_u32 s3, 0
	s_cselect_b32 s4, ttmp9, s4
	s_delay_alu instid0(SALU_CYCLE_1)
	v_mad_u32 v20, s4, s5, v1
	s_add_co_i32 s4, s8, -1
	s_delay_alu instid0(VALU_DEP_1) | instid1(SALU_CYCLE_1)
	v_cmp_gt_i32_e32 vcc_lo, s4, v20
	s_and_saveexec_b32 s4, vcc_lo
	s_cbranch_execz .LBB4_238
; %bb.1:
	s_bfe_u32 s4, ttmp6, 0x40010
	s_bfe_u32 s5, ttmp6, 0x40004
	s_add_co_i32 s4, s4, 1
	s_lshr_b32 s2, s2, 16
	s_mul_i32 s4, ttmp7, s4
	v_bfe_u32 v0, v0, 10, 10
	s_add_co_i32 s5, s5, s4
	s_cmp_eq_u32 s3, 0
	s_cselect_b32 s3, ttmp7, s5
	s_delay_alu instid0(VALU_DEP_1) | instid1(SALU_CYCLE_1)
	v_mad_u32 v0, s3, s2, v0
	s_add_co_i32 s2, s9, -1
	s_delay_alu instid0(VALU_DEP_1) | instskip(SKIP_1) | instid1(VALU_DEP_2)
	v_min_i32_e32 v1, v20, v0
	v_cmp_gt_i32_e32 vcc_lo, s2, v0
	v_cmp_lt_i32_e64 s2, 0, v1
	s_and_b32 s2, s2, vcc_lo
	s_delay_alu instid0(SALU_CYCLE_1)
	s_and_b32 exec_lo, exec_lo, s2
	s_cbranch_execz .LBB4_238
; %bb.2:
	v_mul_lo_u32 v37, v0, s8
	s_clause 0x2
	s_load_b128 s[4:7], s[0:1], 0x38
	s_load_b64 s[12:13], s[0:1], 0x20
	s_load_b64 s[14:15], s[0:1], 0x50
	s_delay_alu instid0(VALU_DEP_1) | instskip(NEXT) | instid1(VALU_DEP_1)
	v_subrev_nc_u32_e32 v21, s8, v37
	v_lshl_add_u32 v36, s8, 1, v21
	v_add_nc_u32_e32 v18, v37, v20
	s_delay_alu instid0(VALU_DEP_2) | instskip(NEXT) | instid1(VALU_DEP_2)
	v_dual_add_nc_u32 v26, v21, v20 :: v_dual_add_nc_u32 v22, v36, v20
	v_ashrrev_i32_e32 v19, 31, v18
	s_delay_alu instid0(VALU_DEP_2) | instskip(NEXT) | instid1(VALU_DEP_3)
	v_dual_ashrrev_i32 v27, 31, v26 :: v_dual_add_nc_u32 v28, -1, v26
	v_dual_ashrrev_i32 v23, 31, v22 :: v_dual_add_nc_u32 v32, -1, v22
	s_delay_alu instid0(VALU_DEP_3) | instskip(NEXT) | instid1(VALU_DEP_3)
	v_lshlrev_b64_e32 v[12:13], 3, v[18:19]
	v_lshlrev_b64_e32 v[14:15], 3, v[26:27]
	s_delay_alu instid0(VALU_DEP_3) | instskip(SKIP_1) | instid1(VALU_DEP_3)
	v_lshlrev_b64_e32 v[16:17], 3, v[22:23]
	s_wait_kmcnt 0x0
	v_add_nc_u64_e32 v[4:5], s[6:7], v[12:13]
	v_add_nc_u64_e32 v[12:13], s[4:5], v[12:13]
	s_delay_alu instid0(VALU_DEP_4) | instskip(NEXT) | instid1(VALU_DEP_4)
	v_add_nc_u64_e32 v[24:25], s[6:7], v[14:15]
	v_add_nc_u64_e32 v[34:35], s[6:7], v[16:17]
	s_clause 0x1
	global_load_b64 v[46:47], v28, s[6:7] scale_offset
	global_load_b128 v[0:3], v[4:5], off
	v_add_nc_u32_e32 v30, -1, v18
	v_add_nc_u64_e32 v[16:17], s[4:5], v[16:17]
	s_clause 0x3
	global_load_b64 v[48:49], v30, s[6:7] scale_offset
	global_load_b64 v[50:51], v32, s[6:7] scale_offset
	global_load_b128 v[4:7], v[24:25], off
	global_load_b128 v[8:11], v[34:35], off
	s_wait_xcnt 0x0
	v_add_nc_u64_e32 v[34:35], s[4:5], v[14:15]
	s_clause 0x5
	global_load_b64 v[24:25], v28, s[4:5] scale_offset
	global_load_b128 v[12:15], v[12:13], off
	global_load_b64 v[52:53], v30, s[4:5] scale_offset
	global_load_b64 v[54:55], v32, s[4:5] scale_offset
	global_load_b128 v[38:41], v[34:35], off
	global_load_b128 v[42:45], v[16:17], off
	s_clause 0x1
	s_load_b64 s[2:3], s[0:1], 0x0
	s_load_b128 s[8:11], s[0:1], 0x10
	s_mov_b32 s4, exec_lo
	s_wait_kmcnt 0x0
	global_load_b32 v34, v18, s[2:3] scale_offset
	s_wait_loadcnt 0xb
	v_add_f64_e64 v[16:17], v[0:1], -v[46:47]
	v_add_f64_e64 v[2:3], v[0:1], -v[2:3]
	s_wait_loadcnt 0xa
	v_add_f64_e64 v[46:47], v[0:1], -v[48:49]
	v_add_f64_e64 v[48:49], v[0:1], -v[0:1]
	s_wait_loadcnt 0x9
	v_add_f64_e64 v[50:51], v[0:1], -v[50:51]
	s_wait_loadcnt 0x8
	v_add_f64_e64 v[56:57], v[0:1], -v[4:5]
	v_add_f64_e64 v[58:59], v[0:1], -v[6:7]
	s_wait_loadcnt 0x7
	v_add_f64_e64 v[60:61], v[0:1], -v[8:9]
	;; [unrolled: 3-line block ×3, first 2 shown]
	s_wait_loadcnt 0x4
	v_add_f64_e64 v[52:53], v[12:13], -v[52:53]
	v_add_f64_e64 v[62:63], v[12:13], -v[12:13]
	;; [unrolled: 1-line block ×3, first 2 shown]
	s_wait_loadcnt 0x3
	v_add_f64_e64 v[54:55], v[12:13], -v[54:55]
	s_wait_loadcnt 0x2
	v_add_f64_e64 v[38:39], v[12:13], -v[38:39]
	v_add_f64_e64 v[40:41], v[12:13], -v[40:41]
	s_wait_loadcnt 0x1
	v_add_f64_e64 v[42:43], v[12:13], -v[42:43]
	v_add_f64_e64 v[44:45], v[12:13], -v[44:45]
	v_mul_f64_e32 v[16:17], v[16:17], v[16:17]
	v_mul_f64_e32 v[6:7], v[2:3], v[2:3]
	;; [unrolled: 1-line block ×9, first 2 shown]
	v_fmac_f64_e32 v[16:17], v[24:25], v[24:25]
	v_fmac_f64_e32 v[6:7], v[64:65], v[64:65]
	;; [unrolled: 1-line block ×9, first 2 shown]
	s_wait_loadcnt 0x0
	v_cmpx_lt_i32_e32 0, v34
	s_xor_b32 s6, exec_lo, s4
	s_cbranch_execz .LBB4_116
; %bb.3:
	v_add_nc_u32_e32 v23, -1, v20
	s_mov_b32 s4, exec_lo
                                        ; implicit-def: $vgpr24_vgpr25
	s_delay_alu instid0(VALU_DEP_1)
	v_add_nc_u32_e32 v20, v23, v21
	global_load_b32 v27, v20, s[2:3] scale_offset
	s_wait_loadcnt 0x0
	v_cmpx_lt_i32_e32 0, v27
	s_xor_b32 s4, exec_lo, s4
	s_cbranch_execz .LBB4_7
; %bb.4:
	v_mov_b64_e32 v[24:25], 0
	v_mov_b32_e32 v21, 0
	s_mov_b32 s5, exec_lo
	v_cmpx_eq_u32_e64 v34, v27
	s_cbranch_execz .LBB4_6
; %bb.5:
	s_delay_alu instid0(VALU_DEP_2) | instskip(SKIP_3) | instid1(VALU_DEP_1)
	v_lshl_add_u64 v[20:21], v[20:21], 3, s[10:11]
	global_load_b64 v[20:21], v[20:21], off
	s_wait_loadcnt 0x0
	v_div_scale_f64 v[24:25], null, v[16:17], v[16:17], v[20:21]
	v_rcp_f64_e32 v[28:29], v[24:25]
	v_nop
	s_delay_alu instid0(TRANS32_DEP_1) | instskip(NEXT) | instid1(VALU_DEP_1)
	v_fma_f64 v[30:31], -v[24:25], v[28:29], 1.0
	v_fmac_f64_e32 v[28:29], v[28:29], v[30:31]
	s_delay_alu instid0(VALU_DEP_1) | instskip(NEXT) | instid1(VALU_DEP_1)
	v_fma_f64 v[30:31], -v[24:25], v[28:29], 1.0
	v_fmac_f64_e32 v[28:29], v[28:29], v[30:31]
	v_div_scale_f64 v[30:31], vcc_lo, v[20:21], v[16:17], v[20:21]
	s_delay_alu instid0(VALU_DEP_1) | instskip(NEXT) | instid1(VALU_DEP_1)
	v_mul_f64_e32 v[32:33], v[30:31], v[28:29]
	v_fma_f64 v[24:25], -v[24:25], v[32:33], v[30:31]
	s_delay_alu instid0(VALU_DEP_1) | instskip(NEXT) | instid1(VALU_DEP_1)
	v_div_fmas_f64 v[24:25], v[24:25], v[28:29], v[32:33]
	v_div_fixup_f64 v[16:17], v[24:25], v[16:17], v[20:21]
	s_delay_alu instid0(VALU_DEP_1)
	v_dual_add_f64 v[24:25], 0, v[16:17] :: v_dual_mov_b32 v21, 1
.LBB4_6:
	s_or_b32 exec_lo, exec_lo, s5
                                        ; implicit-def: $vgpr27
                                        ; implicit-def: $vgpr16_vgpr17
.LBB4_7:
	s_or_saveexec_b32 s4, s4
	v_add_nc_u32_e32 v35, -1, v34
	s_xor_b32 exec_lo, exec_lo, s4
	s_cbranch_execz .LBB4_17
; %bb.8:
	v_dual_sub_nc_u32 v21, 0, v27 :: v_dual_sub_nc_u32 v24, 1, v27
	s_mov_b32 s5, exec_lo
	s_clause 0x1
	global_load_b32 v20, v21, s[14:15] scale_offset
	global_load_b32 v27, v24, s[14:15] scale_offset
	s_wait_xcnt 0x0
	v_mov_b64_e32 v[24:25], 0
	v_mov_b32_e32 v21, 0
	s_wait_loadcnt 0x0
	v_cmpx_lt_i32_e64 v20, v27
	s_cbranch_execz .LBB4_16
; %bb.9:
	v_ashrrev_i32_e32 v21, 31, v20
	s_mov_b32 s16, 0
                                        ; implicit-def: $sgpr7
                                        ; implicit-def: $sgpr18
                                        ; implicit-def: $sgpr17
	s_delay_alu instid0(VALU_DEP_1)
	v_lshl_add_u64 v[24:25], v[20:21], 2, s[8:9]
	s_branch .LBB4_11
.LBB4_10:                               ;   in Loop: Header=BB4_11 Depth=1
	s_or_b32 exec_lo, exec_lo, s19
	s_delay_alu instid0(SALU_CYCLE_1) | instskip(NEXT) | instid1(SALU_CYCLE_1)
	s_and_b32 s19, exec_lo, s18
	s_or_b32 s16, s19, s16
	s_and_not1_b32 s7, s7, exec_lo
	s_and_b32 s19, s17, exec_lo
	s_delay_alu instid0(SALU_CYCLE_1)
	s_or_b32 s7, s7, s19
	s_and_not1_b32 exec_lo, exec_lo, s16
	s_cbranch_execz .LBB4_13
.LBB4_11:                               ; =>This Inner Loop Header: Depth=1
	global_load_b32 v30, v[24:25], off
	v_mov_b64_e32 v[28:29], v[20:21]
	s_or_b32 s17, s17, exec_lo
	s_or_b32 s18, s18, exec_lo
	s_mov_b32 s19, exec_lo
                                        ; implicit-def: $vgpr20_vgpr21
	s_wait_loadcnt 0x0
	v_cmpx_ne_u32_e64 v30, v35
	s_cbranch_execz .LBB4_10
; %bb.12:                               ;   in Loop: Header=BB4_11 Depth=1
	v_add_nc_u64_e32 v[20:21], 1, v[28:29]
	v_add_nc_u64_e32 v[24:25], 4, v[24:25]
	s_and_not1_b32 s18, s18, exec_lo
	s_and_not1_b32 s17, s17, exec_lo
	s_delay_alu instid0(VALU_DEP_2) | instskip(SKIP_1) | instid1(SALU_CYCLE_1)
	v_cmp_ge_i32_e32 vcc_lo, v20, v27
	s_and_b32 s20, vcc_lo, exec_lo
	s_or_b32 s18, s18, s20
	s_branch .LBB4_10
.LBB4_13:
	s_or_b32 exec_lo, exec_lo, s16
	v_mov_b64_e32 v[24:25], 0
	v_mov_b32_e32 v21, 0
	s_and_saveexec_b32 s16, s7
	s_delay_alu instid0(SALU_CYCLE_1)
	s_xor_b32 s7, exec_lo, s16
	s_cbranch_execz .LBB4_15
; %bb.14:
	v_lshl_add_u64 v[20:21], v[28:29], 3, s[12:13]
	global_load_b64 v[20:21], v[20:21], off
	s_wait_loadcnt 0x0
	v_div_scale_f64 v[24:25], null, v[16:17], v[16:17], v[20:21]
	s_delay_alu instid0(VALU_DEP_1) | instskip(SKIP_1) | instid1(TRANS32_DEP_1)
	v_rcp_f64_e32 v[28:29], v[24:25]
	v_nop
	v_fma_f64 v[30:31], -v[24:25], v[28:29], 1.0
	s_delay_alu instid0(VALU_DEP_1) | instskip(NEXT) | instid1(VALU_DEP_1)
	v_fmac_f64_e32 v[28:29], v[28:29], v[30:31]
	v_fma_f64 v[30:31], -v[24:25], v[28:29], 1.0
	s_delay_alu instid0(VALU_DEP_1) | instskip(SKIP_1) | instid1(VALU_DEP_1)
	v_fmac_f64_e32 v[28:29], v[28:29], v[30:31]
	v_div_scale_f64 v[30:31], vcc_lo, v[20:21], v[16:17], v[20:21]
	v_mul_f64_e32 v[32:33], v[30:31], v[28:29]
	s_delay_alu instid0(VALU_DEP_1) | instskip(NEXT) | instid1(VALU_DEP_1)
	v_fma_f64 v[24:25], -v[24:25], v[32:33], v[30:31]
	v_div_fmas_f64 v[24:25], v[24:25], v[28:29], v[32:33]
	s_delay_alu instid0(VALU_DEP_1) | instskip(NEXT) | instid1(VALU_DEP_1)
	v_div_fixup_f64 v[16:17], v[24:25], v[16:17], v[20:21]
	v_dual_add_f64 v[24:25], 0, v[16:17] :: v_dual_mov_b32 v21, 1
.LBB4_15:
	s_or_b32 exec_lo, exec_lo, s7
.LBB4_16:
	s_delay_alu instid0(SALU_CYCLE_1)
	s_or_b32 exec_lo, exec_lo, s5
.LBB4_17:
	s_delay_alu instid0(SALU_CYCLE_1) | instskip(SKIP_2) | instid1(VALU_DEP_1)
	s_or_b32 exec_lo, exec_lo, s4
	v_mov_b32_e32 v27, 0
	s_mov_b32 s4, exec_lo
	v_lshl_add_u64 v[16:17], v[26:27], 2, s[2:3]
	global_load_b32 v20, v[16:17], off
	s_wait_loadcnt 0x0
	v_cmpx_lt_i32_e32 0, v20
	s_xor_b32 s4, exec_lo, s4
	s_cbranch_execz .LBB4_21
; %bb.18:
	s_mov_b32 s5, exec_lo
	v_cmpx_eq_u32_e64 v34, v20
	s_cbranch_execz .LBB4_20
; %bb.19:
	v_lshl_add_u64 v[28:29], v[26:27], 3, s[10:11]
	v_add_nc_u32_e32 v21, 1, v21
	global_load_b64 v[28:29], v[28:29], off
	s_wait_loadcnt 0x0
	v_div_scale_f64 v[30:31], null, v[14:15], v[14:15], v[28:29]
	s_delay_alu instid0(VALU_DEP_1) | instskip(SKIP_1) | instid1(TRANS32_DEP_1)
	v_rcp_f64_e32 v[32:33], v[30:31]
	v_nop
	v_fma_f64 v[38:39], -v[30:31], v[32:33], 1.0
	s_delay_alu instid0(VALU_DEP_1) | instskip(NEXT) | instid1(VALU_DEP_1)
	v_fmac_f64_e32 v[32:33], v[32:33], v[38:39]
	v_fma_f64 v[38:39], -v[30:31], v[32:33], 1.0
	s_delay_alu instid0(VALU_DEP_1) | instskip(SKIP_1) | instid1(VALU_DEP_1)
	v_fmac_f64_e32 v[32:33], v[32:33], v[38:39]
	v_div_scale_f64 v[38:39], vcc_lo, v[28:29], v[14:15], v[28:29]
	v_mul_f64_e32 v[40:41], v[38:39], v[32:33]
	s_delay_alu instid0(VALU_DEP_1) | instskip(NEXT) | instid1(VALU_DEP_1)
	v_fma_f64 v[30:31], -v[30:31], v[40:41], v[38:39]
	v_div_fmas_f64 v[30:31], v[30:31], v[32:33], v[40:41]
	s_delay_alu instid0(VALU_DEP_1) | instskip(NEXT) | instid1(VALU_DEP_1)
	v_div_fixup_f64 v[14:15], v[30:31], v[14:15], v[28:29]
	v_add_f64_e32 v[24:25], v[24:25], v[14:15]
.LBB4_20:
	s_or_b32 exec_lo, exec_lo, s5
                                        ; implicit-def: $vgpr20
                                        ; implicit-def: $vgpr14_vgpr15
.LBB4_21:
	s_and_not1_saveexec_b32 s4, s4
	s_cbranch_execz .LBB4_31
; %bb.22:
	v_dual_sub_nc_u32 v29, 0, v20 :: v_dual_sub_nc_u32 v30, 1, v20
	s_mov_b32 s7, 0
	s_mov_b32 s5, exec_lo
	s_clause 0x1
	global_load_b32 v28, v29, s[14:15] scale_offset
	global_load_b32 v20, v30, s[14:15] scale_offset
	s_wait_loadcnt 0x0
	v_cmpx_lt_i32_e64 v28, v20
	s_cbranch_execz .LBB4_30
; %bb.23:
	v_ashrrev_i32_e32 v29, 31, v28
                                        ; implicit-def: $sgpr16
                                        ; implicit-def: $sgpr18
                                        ; implicit-def: $sgpr17
	s_delay_alu instid0(VALU_DEP_1)
	v_lshl_add_u64 v[30:31], v[28:29], 2, s[8:9]
	s_branch .LBB4_25
.LBB4_24:                               ;   in Loop: Header=BB4_25 Depth=1
	s_or_b32 exec_lo, exec_lo, s19
	s_delay_alu instid0(SALU_CYCLE_1) | instskip(NEXT) | instid1(SALU_CYCLE_1)
	s_and_b32 s19, exec_lo, s18
	s_or_b32 s7, s19, s7
	s_and_not1_b32 s16, s16, exec_lo
	s_and_b32 s19, s17, exec_lo
	s_delay_alu instid0(SALU_CYCLE_1)
	s_or_b32 s16, s16, s19
	s_and_not1_b32 exec_lo, exec_lo, s7
	s_cbranch_execz .LBB4_27
.LBB4_25:                               ; =>This Inner Loop Header: Depth=1
	global_load_b32 v38, v[30:31], off
	v_mov_b64_e32 v[32:33], v[28:29]
	s_or_b32 s17, s17, exec_lo
	s_or_b32 s18, s18, exec_lo
	s_mov_b32 s19, exec_lo
                                        ; implicit-def: $vgpr28_vgpr29
	s_wait_loadcnt 0x0
	v_cmpx_ne_u32_e64 v38, v35
	s_cbranch_execz .LBB4_24
; %bb.26:                               ;   in Loop: Header=BB4_25 Depth=1
	v_add_nc_u64_e32 v[28:29], 1, v[32:33]
	v_add_nc_u64_e32 v[30:31], 4, v[30:31]
	s_and_not1_b32 s18, s18, exec_lo
	s_and_not1_b32 s17, s17, exec_lo
	s_delay_alu instid0(VALU_DEP_2) | instskip(SKIP_1) | instid1(SALU_CYCLE_1)
	v_cmp_ge_i32_e32 vcc_lo, v28, v20
	s_and_b32 s20, vcc_lo, exec_lo
	s_or_b32 s18, s18, s20
	s_branch .LBB4_24
.LBB4_27:
	s_or_b32 exec_lo, exec_lo, s7
	s_and_saveexec_b32 s7, s16
	s_delay_alu instid0(SALU_CYCLE_1)
	s_xor_b32 s7, exec_lo, s7
	s_cbranch_execz .LBB4_29
; %bb.28:
	v_lshl_add_u64 v[28:29], v[32:33], 3, s[12:13]
	v_add_nc_u32_e32 v21, 1, v21
	global_load_b64 v[28:29], v[28:29], off
	s_wait_loadcnt 0x0
	v_div_scale_f64 v[30:31], null, v[14:15], v[14:15], v[28:29]
	s_delay_alu instid0(VALU_DEP_1) | instskip(SKIP_1) | instid1(TRANS32_DEP_1)
	v_rcp_f64_e32 v[32:33], v[30:31]
	v_nop
	v_fma_f64 v[38:39], -v[30:31], v[32:33], 1.0
	s_delay_alu instid0(VALU_DEP_1) | instskip(NEXT) | instid1(VALU_DEP_1)
	v_fmac_f64_e32 v[32:33], v[32:33], v[38:39]
	v_fma_f64 v[38:39], -v[30:31], v[32:33], 1.0
	s_delay_alu instid0(VALU_DEP_1) | instskip(SKIP_1) | instid1(VALU_DEP_1)
	v_fmac_f64_e32 v[32:33], v[32:33], v[38:39]
	v_div_scale_f64 v[38:39], vcc_lo, v[28:29], v[14:15], v[28:29]
	v_mul_f64_e32 v[40:41], v[38:39], v[32:33]
	s_delay_alu instid0(VALU_DEP_1) | instskip(NEXT) | instid1(VALU_DEP_1)
	v_fma_f64 v[30:31], -v[30:31], v[40:41], v[38:39]
	v_div_fmas_f64 v[30:31], v[30:31], v[32:33], v[40:41]
	s_delay_alu instid0(VALU_DEP_1) | instskip(NEXT) | instid1(VALU_DEP_1)
	v_div_fixup_f64 v[14:15], v[30:31], v[14:15], v[28:29]
	v_add_f64_e32 v[24:25], v[24:25], v[14:15]
.LBB4_29:
	s_or_b32 exec_lo, exec_lo, s7
.LBB4_30:
	s_delay_alu instid0(SALU_CYCLE_1)
	s_or_b32 exec_lo, exec_lo, s5
.LBB4_31:
	s_delay_alu instid0(SALU_CYCLE_1)
	s_or_b32 exec_lo, exec_lo, s4
	global_load_b32 v14, v[16:17], off offset:4
	s_mov_b32 s4, exec_lo
	s_wait_loadcnt 0x0
	v_cmpx_lt_i32_e32 0, v14
	s_xor_b32 s4, exec_lo, s4
	s_cbranch_execz .LBB4_35
; %bb.32:
	s_mov_b32 s5, exec_lo
	v_cmpx_eq_u32_e64 v34, v14
	s_cbranch_execz .LBB4_34
; %bb.33:
	v_lshl_add_u64 v[14:15], v[26:27], 3, s[10:11]
	v_add_nc_u32_e32 v21, 1, v21
	global_load_b64 v[14:15], v[14:15], off offset:8
	s_wait_loadcnt 0x0
	v_div_scale_f64 v[16:17], null, v[12:13], v[12:13], v[14:15]
	s_delay_alu instid0(VALU_DEP_1) | instskip(SKIP_1) | instid1(TRANS32_DEP_1)
	v_rcp_f64_e32 v[26:27], v[16:17]
	v_nop
	v_fma_f64 v[28:29], -v[16:17], v[26:27], 1.0
	s_delay_alu instid0(VALU_DEP_1) | instskip(NEXT) | instid1(VALU_DEP_1)
	v_fmac_f64_e32 v[26:27], v[26:27], v[28:29]
	v_fma_f64 v[28:29], -v[16:17], v[26:27], 1.0
	s_delay_alu instid0(VALU_DEP_1) | instskip(SKIP_1) | instid1(VALU_DEP_1)
	v_fmac_f64_e32 v[26:27], v[26:27], v[28:29]
	v_div_scale_f64 v[28:29], vcc_lo, v[14:15], v[12:13], v[14:15]
	v_mul_f64_e32 v[30:31], v[28:29], v[26:27]
	s_delay_alu instid0(VALU_DEP_1) | instskip(NEXT) | instid1(VALU_DEP_1)
	v_fma_f64 v[16:17], -v[16:17], v[30:31], v[28:29]
	v_div_fmas_f64 v[16:17], v[16:17], v[26:27], v[30:31]
	s_delay_alu instid0(VALU_DEP_1) | instskip(NEXT) | instid1(VALU_DEP_1)
	v_div_fixup_f64 v[12:13], v[16:17], v[12:13], v[14:15]
	v_add_f64_e32 v[24:25], v[24:25], v[12:13]
.LBB4_34:
	s_or_b32 exec_lo, exec_lo, s5
                                        ; implicit-def: $vgpr14
                                        ; implicit-def: $vgpr12_vgpr13
.LBB4_35:
	s_and_not1_saveexec_b32 s4, s4
	s_cbranch_execz .LBB4_45
; %bb.36:
	v_dual_sub_nc_u32 v15, 0, v14 :: v_dual_sub_nc_u32 v16, 1, v14
	s_mov_b32 s7, 0
	s_mov_b32 s5, exec_lo
	s_clause 0x1
	global_load_b32 v14, v15, s[14:15] scale_offset
	global_load_b32 v20, v16, s[14:15] scale_offset
	s_wait_loadcnt 0x0
	v_cmpx_lt_i32_e64 v14, v20
	s_cbranch_execz .LBB4_44
; %bb.37:
	v_ashrrev_i32_e32 v15, 31, v14
                                        ; implicit-def: $sgpr16
                                        ; implicit-def: $sgpr18
                                        ; implicit-def: $sgpr17
	s_delay_alu instid0(VALU_DEP_1)
	v_lshl_add_u64 v[16:17], v[14:15], 2, s[8:9]
	s_branch .LBB4_39
.LBB4_38:                               ;   in Loop: Header=BB4_39 Depth=1
	s_or_b32 exec_lo, exec_lo, s19
	s_delay_alu instid0(SALU_CYCLE_1) | instskip(NEXT) | instid1(SALU_CYCLE_1)
	s_and_b32 s19, exec_lo, s18
	s_or_b32 s7, s19, s7
	s_and_not1_b32 s16, s16, exec_lo
	s_and_b32 s19, s17, exec_lo
	s_delay_alu instid0(SALU_CYCLE_1)
	s_or_b32 s16, s16, s19
	s_and_not1_b32 exec_lo, exec_lo, s7
	s_cbranch_execz .LBB4_41
.LBB4_39:                               ; =>This Inner Loop Header: Depth=1
	global_load_b32 v28, v[16:17], off
	v_mov_b64_e32 v[26:27], v[14:15]
	s_or_b32 s17, s17, exec_lo
	s_or_b32 s18, s18, exec_lo
	s_mov_b32 s19, exec_lo
                                        ; implicit-def: $vgpr14_vgpr15
	s_wait_loadcnt 0x0
	v_cmpx_ne_u32_e64 v28, v35
	s_cbranch_execz .LBB4_38
; %bb.40:                               ;   in Loop: Header=BB4_39 Depth=1
	v_add_nc_u64_e32 v[14:15], 1, v[26:27]
	v_add_nc_u64_e32 v[16:17], 4, v[16:17]
	s_and_not1_b32 s18, s18, exec_lo
	s_and_not1_b32 s17, s17, exec_lo
	s_delay_alu instid0(VALU_DEP_2) | instskip(SKIP_1) | instid1(SALU_CYCLE_1)
	v_cmp_ge_i32_e32 vcc_lo, v14, v20
	s_and_b32 s20, vcc_lo, exec_lo
	s_or_b32 s18, s18, s20
	s_branch .LBB4_38
.LBB4_41:
	s_or_b32 exec_lo, exec_lo, s7
	s_and_saveexec_b32 s7, s16
	s_delay_alu instid0(SALU_CYCLE_1)
	s_xor_b32 s7, exec_lo, s7
	s_cbranch_execz .LBB4_43
; %bb.42:
	v_lshl_add_u64 v[14:15], v[26:27], 3, s[12:13]
	v_add_nc_u32_e32 v21, 1, v21
	global_load_b64 v[14:15], v[14:15], off
	s_wait_loadcnt 0x0
	v_div_scale_f64 v[16:17], null, v[12:13], v[12:13], v[14:15]
	s_delay_alu instid0(VALU_DEP_1) | instskip(SKIP_1) | instid1(TRANS32_DEP_1)
	v_rcp_f64_e32 v[26:27], v[16:17]
	v_nop
	v_fma_f64 v[28:29], -v[16:17], v[26:27], 1.0
	s_delay_alu instid0(VALU_DEP_1) | instskip(NEXT) | instid1(VALU_DEP_1)
	v_fmac_f64_e32 v[26:27], v[26:27], v[28:29]
	v_fma_f64 v[28:29], -v[16:17], v[26:27], 1.0
	s_delay_alu instid0(VALU_DEP_1) | instskip(SKIP_1) | instid1(VALU_DEP_1)
	v_fmac_f64_e32 v[26:27], v[26:27], v[28:29]
	v_div_scale_f64 v[28:29], vcc_lo, v[14:15], v[12:13], v[14:15]
	v_mul_f64_e32 v[30:31], v[28:29], v[26:27]
	s_delay_alu instid0(VALU_DEP_1) | instskip(NEXT) | instid1(VALU_DEP_1)
	v_fma_f64 v[16:17], -v[16:17], v[30:31], v[28:29]
	v_div_fmas_f64 v[16:17], v[16:17], v[26:27], v[30:31]
	s_delay_alu instid0(VALU_DEP_1) | instskip(NEXT) | instid1(VALU_DEP_1)
	v_div_fixup_f64 v[12:13], v[16:17], v[12:13], v[14:15]
	v_add_f64_e32 v[24:25], v[24:25], v[12:13]
.LBB4_43:
	s_or_b32 exec_lo, exec_lo, s7
.LBB4_44:
	s_delay_alu instid0(SALU_CYCLE_1)
	s_or_b32 exec_lo, exec_lo, s5
.LBB4_45:
	s_delay_alu instid0(SALU_CYCLE_1)
	s_or_b32 exec_lo, exec_lo, s4
	v_add_nc_u32_e32 v12, v23, v37
	s_mov_b32 s4, exec_lo
	global_load_b32 v13, v12, s[2:3] scale_offset
	s_wait_loadcnt 0x0
	v_cmpx_lt_i32_e32 0, v13
	s_xor_b32 s4, exec_lo, s4
	s_cbranch_execz .LBB4_49
; %bb.46:
	s_mov_b32 s5, exec_lo
	v_cmpx_eq_u32_e64 v34, v13
	s_cbranch_execz .LBB4_48
; %bb.47:
	v_dual_mov_b32 v13, 0 :: v_dual_add_nc_u32 v21, 1, v21
	s_delay_alu instid0(VALU_DEP_1) | instskip(SKIP_3) | instid1(VALU_DEP_1)
	v_lshl_add_u64 v[12:13], v[12:13], 3, s[10:11]
	global_load_b64 v[12:13], v[12:13], off
	s_wait_loadcnt 0x0
	v_div_scale_f64 v[14:15], null, v[10:11], v[10:11], v[12:13]
	v_rcp_f64_e32 v[16:17], v[14:15]
	v_nop
	s_delay_alu instid0(TRANS32_DEP_1) | instskip(NEXT) | instid1(VALU_DEP_1)
	v_fma_f64 v[26:27], -v[14:15], v[16:17], 1.0
	v_fmac_f64_e32 v[16:17], v[16:17], v[26:27]
	s_delay_alu instid0(VALU_DEP_1) | instskip(NEXT) | instid1(VALU_DEP_1)
	v_fma_f64 v[26:27], -v[14:15], v[16:17], 1.0
	v_fmac_f64_e32 v[16:17], v[16:17], v[26:27]
	v_div_scale_f64 v[26:27], vcc_lo, v[12:13], v[10:11], v[12:13]
	s_delay_alu instid0(VALU_DEP_1) | instskip(NEXT) | instid1(VALU_DEP_1)
	v_mul_f64_e32 v[28:29], v[26:27], v[16:17]
	v_fma_f64 v[14:15], -v[14:15], v[28:29], v[26:27]
	s_delay_alu instid0(VALU_DEP_1) | instskip(NEXT) | instid1(VALU_DEP_1)
	v_div_fmas_f64 v[14:15], v[14:15], v[16:17], v[28:29]
	v_div_fixup_f64 v[10:11], v[14:15], v[10:11], v[12:13]
	s_delay_alu instid0(VALU_DEP_1)
	v_add_f64_e32 v[24:25], v[24:25], v[10:11]
.LBB4_48:
	s_or_b32 exec_lo, exec_lo, s5
                                        ; implicit-def: $vgpr13
                                        ; implicit-def: $vgpr10_vgpr11
.LBB4_49:
	s_and_not1_saveexec_b32 s4, s4
	s_cbranch_execz .LBB4_59
; %bb.50:
	v_dual_sub_nc_u32 v14, 0, v13 :: v_dual_sub_nc_u32 v13, 1, v13
	s_mov_b32 s7, 0
	s_mov_b32 s5, exec_lo
	s_clause 0x1
	global_load_b32 v12, v14, s[14:15] scale_offset
	global_load_b32 v20, v13, s[14:15] scale_offset
	s_wait_loadcnt 0x0
	v_cmpx_lt_i32_e64 v12, v20
	s_cbranch_execz .LBB4_58
; %bb.51:
	v_ashrrev_i32_e32 v13, 31, v12
                                        ; implicit-def: $sgpr16
                                        ; implicit-def: $sgpr18
                                        ; implicit-def: $sgpr17
	s_delay_alu instid0(VALU_DEP_1)
	v_lshl_add_u64 v[14:15], v[12:13], 2, s[8:9]
	s_branch .LBB4_53
.LBB4_52:                               ;   in Loop: Header=BB4_53 Depth=1
	s_or_b32 exec_lo, exec_lo, s19
	s_delay_alu instid0(SALU_CYCLE_1) | instskip(NEXT) | instid1(SALU_CYCLE_1)
	s_and_b32 s19, exec_lo, s18
	s_or_b32 s7, s19, s7
	s_and_not1_b32 s16, s16, exec_lo
	s_and_b32 s19, s17, exec_lo
	s_delay_alu instid0(SALU_CYCLE_1)
	s_or_b32 s16, s16, s19
	s_and_not1_b32 exec_lo, exec_lo, s7
	s_cbranch_execz .LBB4_55
.LBB4_53:                               ; =>This Inner Loop Header: Depth=1
	global_load_b32 v26, v[14:15], off
	v_mov_b64_e32 v[16:17], v[12:13]
	s_or_b32 s17, s17, exec_lo
	s_or_b32 s18, s18, exec_lo
	s_mov_b32 s19, exec_lo
                                        ; implicit-def: $vgpr12_vgpr13
	s_wait_loadcnt 0x0
	v_cmpx_ne_u32_e64 v26, v35
	s_cbranch_execz .LBB4_52
; %bb.54:                               ;   in Loop: Header=BB4_53 Depth=1
	v_add_nc_u64_e32 v[12:13], 1, v[16:17]
	v_add_nc_u64_e32 v[14:15], 4, v[14:15]
	s_and_not1_b32 s18, s18, exec_lo
	s_and_not1_b32 s17, s17, exec_lo
	s_delay_alu instid0(VALU_DEP_2) | instskip(SKIP_1) | instid1(SALU_CYCLE_1)
	v_cmp_ge_i32_e32 vcc_lo, v12, v20
	s_and_b32 s20, vcc_lo, exec_lo
	s_or_b32 s18, s18, s20
	s_branch .LBB4_52
.LBB4_55:
	s_or_b32 exec_lo, exec_lo, s7
	s_and_saveexec_b32 s7, s16
	s_delay_alu instid0(SALU_CYCLE_1)
	s_xor_b32 s7, exec_lo, s7
	s_cbranch_execz .LBB4_57
; %bb.56:
	v_lshl_add_u64 v[12:13], v[16:17], 3, s[12:13]
	v_add_nc_u32_e32 v21, 1, v21
	global_load_b64 v[12:13], v[12:13], off
	s_wait_loadcnt 0x0
	v_div_scale_f64 v[14:15], null, v[10:11], v[10:11], v[12:13]
	s_delay_alu instid0(VALU_DEP_1) | instskip(SKIP_1) | instid1(TRANS32_DEP_1)
	v_rcp_f64_e32 v[16:17], v[14:15]
	v_nop
	v_fma_f64 v[26:27], -v[14:15], v[16:17], 1.0
	s_delay_alu instid0(VALU_DEP_1) | instskip(NEXT) | instid1(VALU_DEP_1)
	v_fmac_f64_e32 v[16:17], v[16:17], v[26:27]
	v_fma_f64 v[26:27], -v[14:15], v[16:17], 1.0
	s_delay_alu instid0(VALU_DEP_1) | instskip(SKIP_1) | instid1(VALU_DEP_1)
	v_fmac_f64_e32 v[16:17], v[16:17], v[26:27]
	v_div_scale_f64 v[26:27], vcc_lo, v[12:13], v[10:11], v[12:13]
	v_mul_f64_e32 v[28:29], v[26:27], v[16:17]
	s_delay_alu instid0(VALU_DEP_1) | instskip(NEXT) | instid1(VALU_DEP_1)
	v_fma_f64 v[14:15], -v[14:15], v[28:29], v[26:27]
	v_div_fmas_f64 v[14:15], v[14:15], v[16:17], v[28:29]
	s_delay_alu instid0(VALU_DEP_1) | instskip(NEXT) | instid1(VALU_DEP_1)
	v_div_fixup_f64 v[10:11], v[14:15], v[10:11], v[12:13]
	v_add_f64_e32 v[24:25], v[24:25], v[10:11]
.LBB4_57:
	s_or_b32 exec_lo, exec_lo, s7
.LBB4_58:
	s_delay_alu instid0(SALU_CYCLE_1)
	s_or_b32 exec_lo, exec_lo, s5
.LBB4_59:
	s_delay_alu instid0(SALU_CYCLE_1) | instskip(SKIP_2) | instid1(VALU_DEP_1)
	s_or_b32 exec_lo, exec_lo, s4
	v_dual_mov_b32 v13, 0 :: v_dual_mov_b32 v12, v18
	s_mov_b32 s4, exec_lo
	v_lshl_add_u64 v[10:11], v[12:13], 3, s[10:11]
	v_lshl_add_u64 v[12:13], v[12:13], 2, s[2:3]
	global_load_b64 v[14:15], v[10:11], off
	global_load_b32 v12, v[12:13], off offset:4
	s_wait_loadcnt 0x1
	v_div_scale_f64 v[16:17], null, v[8:9], v[8:9], v[14:15]
	s_delay_alu instid0(VALU_DEP_1) | instskip(SKIP_1) | instid1(TRANS32_DEP_1)
	v_rcp_f64_e32 v[26:27], v[16:17]
	v_nop
	v_fma_f64 v[28:29], -v[16:17], v[26:27], 1.0
	s_delay_alu instid0(VALU_DEP_1) | instskip(NEXT) | instid1(VALU_DEP_1)
	v_fmac_f64_e32 v[26:27], v[26:27], v[28:29]
	v_fma_f64 v[28:29], -v[16:17], v[26:27], 1.0
	s_delay_alu instid0(VALU_DEP_1) | instskip(SKIP_1) | instid1(VALU_DEP_1)
	v_fmac_f64_e32 v[26:27], v[26:27], v[28:29]
	v_div_scale_f64 v[28:29], vcc_lo, v[14:15], v[8:9], v[14:15]
	v_mul_f64_e32 v[30:31], v[28:29], v[26:27]
	s_delay_alu instid0(VALU_DEP_1) | instskip(NEXT) | instid1(VALU_DEP_1)
	v_fma_f64 v[16:17], -v[16:17], v[30:31], v[28:29]
	v_div_fmas_f64 v[16:17], v[16:17], v[26:27], v[30:31]
	s_delay_alu instid0(VALU_DEP_1) | instskip(SKIP_1) | instid1(VALU_DEP_2)
	v_div_fixup_f64 v[8:9], v[16:17], v[8:9], v[14:15]
	v_add_nc_u32_e32 v16, 1, v21
	v_add_f64_e32 v[8:9], v[24:25], v[8:9]
	s_wait_loadcnt 0x0
	v_cmpx_lt_i32_e32 0, v12
	s_xor_b32 s4, exec_lo, s4
	s_cbranch_execz .LBB4_63
; %bb.60:
	s_mov_b32 s5, exec_lo
	v_cmpx_eq_u32_e64 v34, v12
	s_cbranch_execz .LBB4_62
; %bb.61:
	global_load_b64 v[10:11], v[10:11], off offset:8
	s_wait_loadcnt 0x0
	v_div_scale_f64 v[12:13], null, v[6:7], v[6:7], v[10:11]
	s_delay_alu instid0(VALU_DEP_1) | instskip(SKIP_1) | instid1(TRANS32_DEP_1)
	v_rcp_f64_e32 v[14:15], v[12:13]
	v_nop
	v_fma_f64 v[16:17], -v[12:13], v[14:15], 1.0
	s_delay_alu instid0(VALU_DEP_1) | instskip(NEXT) | instid1(VALU_DEP_1)
	v_fmac_f64_e32 v[14:15], v[14:15], v[16:17]
	v_fma_f64 v[16:17], -v[12:13], v[14:15], 1.0
	s_delay_alu instid0(VALU_DEP_1) | instskip(SKIP_1) | instid1(VALU_DEP_1)
	v_fmac_f64_e32 v[14:15], v[14:15], v[16:17]
	v_div_scale_f64 v[16:17], vcc_lo, v[10:11], v[6:7], v[10:11]
	v_mul_f64_e32 v[24:25], v[16:17], v[14:15]
	s_delay_alu instid0(VALU_DEP_1) | instskip(SKIP_1) | instid1(VALU_DEP_2)
	v_fma_f64 v[12:13], -v[12:13], v[24:25], v[16:17]
	v_add_nc_u32_e32 v16, 2, v21
	v_div_fmas_f64 v[12:13], v[12:13], v[14:15], v[24:25]
	s_delay_alu instid0(VALU_DEP_1) | instskip(NEXT) | instid1(VALU_DEP_1)
	v_div_fixup_f64 v[6:7], v[12:13], v[6:7], v[10:11]
	v_add_f64_e32 v[8:9], v[8:9], v[6:7]
.LBB4_62:
	s_or_b32 exec_lo, exec_lo, s5
                                        ; implicit-def: $vgpr12
                                        ; implicit-def: $vgpr6_vgpr7
                                        ; implicit-def: $vgpr21
.LBB4_63:
	s_and_not1_saveexec_b32 s4, s4
	s_cbranch_execz .LBB4_73
; %bb.64:
	v_dual_sub_nc_u32 v11, 0, v12 :: v_dual_sub_nc_u32 v12, 1, v12
	s_mov_b32 s7, 0
	s_mov_b32 s5, exec_lo
	s_clause 0x1
	global_load_b32 v10, v11, s[14:15] scale_offset
	global_load_b32 v17, v12, s[14:15] scale_offset
	s_wait_loadcnt 0x0
	v_cmpx_lt_i32_e64 v10, v17
	s_cbranch_execz .LBB4_72
; %bb.65:
	v_ashrrev_i32_e32 v11, 31, v10
                                        ; implicit-def: $sgpr16
                                        ; implicit-def: $sgpr18
                                        ; implicit-def: $sgpr17
	s_delay_alu instid0(VALU_DEP_1)
	v_lshl_add_u64 v[12:13], v[10:11], 2, s[8:9]
	s_branch .LBB4_67
.LBB4_66:                               ;   in Loop: Header=BB4_67 Depth=1
	s_or_b32 exec_lo, exec_lo, s19
	s_delay_alu instid0(SALU_CYCLE_1) | instskip(NEXT) | instid1(SALU_CYCLE_1)
	s_and_b32 s19, exec_lo, s18
	s_or_b32 s7, s19, s7
	s_and_not1_b32 s16, s16, exec_lo
	s_and_b32 s19, s17, exec_lo
	s_delay_alu instid0(SALU_CYCLE_1)
	s_or_b32 s16, s16, s19
	s_and_not1_b32 exec_lo, exec_lo, s7
	s_cbranch_execz .LBB4_69
.LBB4_67:                               ; =>This Inner Loop Header: Depth=1
	global_load_b32 v20, v[12:13], off
	v_mov_b64_e32 v[14:15], v[10:11]
	s_or_b32 s17, s17, exec_lo
	s_or_b32 s18, s18, exec_lo
	s_mov_b32 s19, exec_lo
                                        ; implicit-def: $vgpr10_vgpr11
	s_wait_loadcnt 0x0
	v_cmpx_ne_u32_e64 v20, v35
	s_cbranch_execz .LBB4_66
; %bb.68:                               ;   in Loop: Header=BB4_67 Depth=1
	v_add_nc_u64_e32 v[10:11], 1, v[14:15]
	v_add_nc_u64_e32 v[12:13], 4, v[12:13]
	s_and_not1_b32 s18, s18, exec_lo
	s_and_not1_b32 s17, s17, exec_lo
	s_delay_alu instid0(VALU_DEP_2) | instskip(SKIP_1) | instid1(SALU_CYCLE_1)
	v_cmp_ge_i32_e32 vcc_lo, v10, v17
	s_and_b32 s20, vcc_lo, exec_lo
	s_or_b32 s18, s18, s20
	s_branch .LBB4_66
.LBB4_69:
	s_or_b32 exec_lo, exec_lo, s7
	s_and_saveexec_b32 s7, s16
	s_delay_alu instid0(SALU_CYCLE_1)
	s_xor_b32 s7, exec_lo, s7
	s_cbranch_execz .LBB4_71
; %bb.70:
	v_lshl_add_u64 v[10:11], v[14:15], 3, s[12:13]
	global_load_b64 v[10:11], v[10:11], off
	s_wait_loadcnt 0x0
	v_div_scale_f64 v[12:13], null, v[6:7], v[6:7], v[10:11]
	s_delay_alu instid0(VALU_DEP_1) | instskip(SKIP_1) | instid1(TRANS32_DEP_1)
	v_rcp_f64_e32 v[14:15], v[12:13]
	v_nop
	v_fma_f64 v[16:17], -v[12:13], v[14:15], 1.0
	s_delay_alu instid0(VALU_DEP_1) | instskip(NEXT) | instid1(VALU_DEP_1)
	v_fmac_f64_e32 v[14:15], v[14:15], v[16:17]
	v_fma_f64 v[16:17], -v[12:13], v[14:15], 1.0
	s_delay_alu instid0(VALU_DEP_1) | instskip(SKIP_1) | instid1(VALU_DEP_1)
	v_fmac_f64_e32 v[14:15], v[14:15], v[16:17]
	v_div_scale_f64 v[16:17], vcc_lo, v[10:11], v[6:7], v[10:11]
	v_mul_f64_e32 v[24:25], v[16:17], v[14:15]
	s_delay_alu instid0(VALU_DEP_1) | instskip(SKIP_1) | instid1(VALU_DEP_2)
	v_fma_f64 v[12:13], -v[12:13], v[24:25], v[16:17]
	v_add_nc_u32_e32 v16, 2, v21
	v_div_fmas_f64 v[12:13], v[12:13], v[14:15], v[24:25]
	s_delay_alu instid0(VALU_DEP_1) | instskip(NEXT) | instid1(VALU_DEP_1)
	v_div_fixup_f64 v[6:7], v[12:13], v[6:7], v[10:11]
	v_add_f64_e32 v[8:9], v[8:9], v[6:7]
.LBB4_71:
	s_or_b32 exec_lo, exec_lo, s7
.LBB4_72:
	s_delay_alu instid0(SALU_CYCLE_1)
	s_or_b32 exec_lo, exec_lo, s5
.LBB4_73:
	s_delay_alu instid0(SALU_CYCLE_1)
	s_or_b32 exec_lo, exec_lo, s4
	v_add_nc_u32_e32 v6, v23, v36
	s_mov_b32 s4, exec_lo
	global_load_b32 v7, v6, s[2:3] scale_offset
	s_wait_loadcnt 0x0
	v_cmpx_lt_i32_e32 0, v7
	s_xor_b32 s4, exec_lo, s4
	s_cbranch_execz .LBB4_77
; %bb.74:
	s_mov_b32 s5, exec_lo
	v_cmpx_eq_u32_e64 v34, v7
	s_cbranch_execz .LBB4_76
; %bb.75:
	v_dual_mov_b32 v7, 0 :: v_dual_add_nc_u32 v16, 1, v16
	s_delay_alu instid0(VALU_DEP_1) | instskip(SKIP_3) | instid1(VALU_DEP_1)
	v_lshl_add_u64 v[6:7], v[6:7], 3, s[10:11]
	global_load_b64 v[6:7], v[6:7], off
	s_wait_loadcnt 0x0
	v_div_scale_f64 v[10:11], null, v[4:5], v[4:5], v[6:7]
	v_rcp_f64_e32 v[12:13], v[10:11]
	v_nop
	s_delay_alu instid0(TRANS32_DEP_1) | instskip(NEXT) | instid1(VALU_DEP_1)
	v_fma_f64 v[14:15], -v[10:11], v[12:13], 1.0
	v_fmac_f64_e32 v[12:13], v[12:13], v[14:15]
	s_delay_alu instid0(VALU_DEP_1) | instskip(NEXT) | instid1(VALU_DEP_1)
	v_fma_f64 v[14:15], -v[10:11], v[12:13], 1.0
	v_fmac_f64_e32 v[12:13], v[12:13], v[14:15]
	v_div_scale_f64 v[14:15], vcc_lo, v[6:7], v[4:5], v[6:7]
	s_delay_alu instid0(VALU_DEP_1) | instskip(NEXT) | instid1(VALU_DEP_1)
	v_mul_f64_e32 v[20:21], v[14:15], v[12:13]
	v_fma_f64 v[10:11], -v[10:11], v[20:21], v[14:15]
	s_delay_alu instid0(VALU_DEP_1) | instskip(NEXT) | instid1(VALU_DEP_1)
	v_div_fmas_f64 v[10:11], v[10:11], v[12:13], v[20:21]
	v_div_fixup_f64 v[4:5], v[10:11], v[4:5], v[6:7]
	s_delay_alu instid0(VALU_DEP_1)
	v_add_f64_e32 v[8:9], v[8:9], v[4:5]
.LBB4_76:
	s_or_b32 exec_lo, exec_lo, s5
                                        ; implicit-def: $vgpr7
                                        ; implicit-def: $vgpr4_vgpr5
.LBB4_77:
	s_and_not1_saveexec_b32 s4, s4
	s_cbranch_execz .LBB4_87
; %bb.78:
	v_dual_sub_nc_u32 v10, 0, v7 :: v_dual_sub_nc_u32 v7, 1, v7
	s_mov_b32 s7, 0
	s_mov_b32 s5, exec_lo
	s_clause 0x1
	global_load_b32 v6, v10, s[14:15] scale_offset
	global_load_b32 v14, v7, s[14:15] scale_offset
	s_wait_loadcnt 0x0
	v_cmpx_lt_i32_e64 v6, v14
	s_cbranch_execz .LBB4_86
; %bb.79:
	v_ashrrev_i32_e32 v7, 31, v6
                                        ; implicit-def: $sgpr16
                                        ; implicit-def: $sgpr18
                                        ; implicit-def: $sgpr17
	s_delay_alu instid0(VALU_DEP_1)
	v_lshl_add_u64 v[10:11], v[6:7], 2, s[8:9]
	s_branch .LBB4_81
.LBB4_80:                               ;   in Loop: Header=BB4_81 Depth=1
	s_or_b32 exec_lo, exec_lo, s19
	s_delay_alu instid0(SALU_CYCLE_1) | instskip(NEXT) | instid1(SALU_CYCLE_1)
	s_and_b32 s19, exec_lo, s18
	s_or_b32 s7, s19, s7
	s_and_not1_b32 s16, s16, exec_lo
	s_and_b32 s19, s17, exec_lo
	s_delay_alu instid0(SALU_CYCLE_1)
	s_or_b32 s16, s16, s19
	s_and_not1_b32 exec_lo, exec_lo, s7
	s_cbranch_execz .LBB4_83
.LBB4_81:                               ; =>This Inner Loop Header: Depth=1
	global_load_b32 v15, v[10:11], off
	v_mov_b64_e32 v[12:13], v[6:7]
	s_or_b32 s17, s17, exec_lo
	s_or_b32 s18, s18, exec_lo
	s_mov_b32 s19, exec_lo
                                        ; implicit-def: $vgpr6_vgpr7
	s_wait_loadcnt 0x0
	v_cmpx_ne_u32_e64 v15, v35
	s_cbranch_execz .LBB4_80
; %bb.82:                               ;   in Loop: Header=BB4_81 Depth=1
	v_add_nc_u64_e32 v[6:7], 1, v[12:13]
	v_add_nc_u64_e32 v[10:11], 4, v[10:11]
	s_and_not1_b32 s18, s18, exec_lo
	s_and_not1_b32 s17, s17, exec_lo
	s_delay_alu instid0(VALU_DEP_2) | instskip(SKIP_1) | instid1(SALU_CYCLE_1)
	v_cmp_ge_i32_e32 vcc_lo, v6, v14
	s_and_b32 s20, vcc_lo, exec_lo
	s_or_b32 s18, s18, s20
	s_branch .LBB4_80
.LBB4_83:
	s_or_b32 exec_lo, exec_lo, s7
	s_and_saveexec_b32 s7, s16
	s_delay_alu instid0(SALU_CYCLE_1)
	s_xor_b32 s7, exec_lo, s7
	s_cbranch_execz .LBB4_85
; %bb.84:
	v_lshl_add_u64 v[6:7], v[12:13], 3, s[12:13]
	v_add_nc_u32_e32 v16, 1, v16
	global_load_b64 v[6:7], v[6:7], off
	s_wait_loadcnt 0x0
	v_div_scale_f64 v[10:11], null, v[4:5], v[4:5], v[6:7]
	s_delay_alu instid0(VALU_DEP_1) | instskip(SKIP_1) | instid1(TRANS32_DEP_1)
	v_rcp_f64_e32 v[12:13], v[10:11]
	v_nop
	v_fma_f64 v[14:15], -v[10:11], v[12:13], 1.0
	s_delay_alu instid0(VALU_DEP_1) | instskip(NEXT) | instid1(VALU_DEP_1)
	v_fmac_f64_e32 v[12:13], v[12:13], v[14:15]
	v_fma_f64 v[14:15], -v[10:11], v[12:13], 1.0
	s_delay_alu instid0(VALU_DEP_1) | instskip(SKIP_1) | instid1(VALU_DEP_1)
	v_fmac_f64_e32 v[12:13], v[12:13], v[14:15]
	v_div_scale_f64 v[14:15], vcc_lo, v[6:7], v[4:5], v[6:7]
	v_mul_f64_e32 v[20:21], v[14:15], v[12:13]
	s_delay_alu instid0(VALU_DEP_1) | instskip(NEXT) | instid1(VALU_DEP_1)
	v_fma_f64 v[10:11], -v[10:11], v[20:21], v[14:15]
	v_div_fmas_f64 v[10:11], v[10:11], v[12:13], v[20:21]
	s_delay_alu instid0(VALU_DEP_1) | instskip(NEXT) | instid1(VALU_DEP_1)
	v_div_fixup_f64 v[4:5], v[10:11], v[4:5], v[6:7]
	v_add_f64_e32 v[8:9], v[8:9], v[4:5]
.LBB4_85:
	s_or_b32 exec_lo, exec_lo, s7
.LBB4_86:
	s_delay_alu instid0(SALU_CYCLE_1)
	s_or_b32 exec_lo, exec_lo, s5
.LBB4_87:
	s_delay_alu instid0(SALU_CYCLE_1) | instskip(SKIP_2) | instid1(VALU_DEP_1)
	s_or_b32 exec_lo, exec_lo, s4
	v_mov_b32_e32 v23, 0
	s_mov_b32 s4, exec_lo
	v_lshl_add_u64 v[4:5], v[22:23], 2, s[2:3]
	global_load_b32 v6, v[4:5], off
	s_wait_loadcnt 0x0
	v_cmpx_lt_i32_e32 0, v6
	s_xor_b32 s4, exec_lo, s4
	s_cbranch_execz .LBB4_91
; %bb.88:
	s_mov_b32 s5, exec_lo
	v_cmpx_eq_u32_e64 v34, v6
	s_cbranch_execz .LBB4_90
; %bb.89:
	v_lshl_add_u64 v[6:7], v[22:23], 3, s[10:11]
	v_add_nc_u32_e32 v16, 1, v16
	global_load_b64 v[6:7], v[6:7], off
	s_wait_loadcnt 0x0
	v_div_scale_f64 v[10:11], null, v[2:3], v[2:3], v[6:7]
	s_delay_alu instid0(VALU_DEP_1) | instskip(SKIP_1) | instid1(TRANS32_DEP_1)
	v_rcp_f64_e32 v[12:13], v[10:11]
	v_nop
	v_fma_f64 v[14:15], -v[10:11], v[12:13], 1.0
	s_delay_alu instid0(VALU_DEP_1) | instskip(NEXT) | instid1(VALU_DEP_1)
	v_fmac_f64_e32 v[12:13], v[12:13], v[14:15]
	v_fma_f64 v[14:15], -v[10:11], v[12:13], 1.0
	s_delay_alu instid0(VALU_DEP_1) | instskip(SKIP_1) | instid1(VALU_DEP_1)
	v_fmac_f64_e32 v[12:13], v[12:13], v[14:15]
	v_div_scale_f64 v[14:15], vcc_lo, v[6:7], v[2:3], v[6:7]
	v_mul_f64_e32 v[20:21], v[14:15], v[12:13]
	s_delay_alu instid0(VALU_DEP_1) | instskip(NEXT) | instid1(VALU_DEP_1)
	v_fma_f64 v[10:11], -v[10:11], v[20:21], v[14:15]
	v_div_fmas_f64 v[10:11], v[10:11], v[12:13], v[20:21]
	s_delay_alu instid0(VALU_DEP_1) | instskip(NEXT) | instid1(VALU_DEP_1)
	v_div_fixup_f64 v[2:3], v[10:11], v[2:3], v[6:7]
	v_add_f64_e32 v[8:9], v[8:9], v[2:3]
.LBB4_90:
	s_or_b32 exec_lo, exec_lo, s5
                                        ; implicit-def: $vgpr6
                                        ; implicit-def: $vgpr2_vgpr3
.LBB4_91:
	s_and_not1_saveexec_b32 s4, s4
	s_cbranch_execz .LBB4_101
; %bb.92:
	v_dual_sub_nc_u32 v7, 0, v6 :: v_dual_sub_nc_u32 v10, 1, v6
	s_mov_b32 s7, 0
	s_mov_b32 s5, exec_lo
	s_clause 0x1
	global_load_b32 v6, v7, s[14:15] scale_offset
	global_load_b32 v14, v10, s[14:15] scale_offset
	s_wait_loadcnt 0x0
	v_cmpx_lt_i32_e64 v6, v14
	s_cbranch_execz .LBB4_100
; %bb.93:
	v_ashrrev_i32_e32 v7, 31, v6
                                        ; implicit-def: $sgpr16
                                        ; implicit-def: $sgpr18
                                        ; implicit-def: $sgpr17
	s_delay_alu instid0(VALU_DEP_1)
	v_lshl_add_u64 v[10:11], v[6:7], 2, s[8:9]
	s_branch .LBB4_95
.LBB4_94:                               ;   in Loop: Header=BB4_95 Depth=1
	s_or_b32 exec_lo, exec_lo, s19
	s_delay_alu instid0(SALU_CYCLE_1) | instskip(NEXT) | instid1(SALU_CYCLE_1)
	s_and_b32 s19, exec_lo, s18
	s_or_b32 s7, s19, s7
	s_and_not1_b32 s16, s16, exec_lo
	s_and_b32 s19, s17, exec_lo
	s_delay_alu instid0(SALU_CYCLE_1)
	s_or_b32 s16, s16, s19
	s_and_not1_b32 exec_lo, exec_lo, s7
	s_cbranch_execz .LBB4_97
.LBB4_95:                               ; =>This Inner Loop Header: Depth=1
	global_load_b32 v15, v[10:11], off
	v_mov_b64_e32 v[12:13], v[6:7]
	s_or_b32 s17, s17, exec_lo
	s_or_b32 s18, s18, exec_lo
	s_mov_b32 s19, exec_lo
                                        ; implicit-def: $vgpr6_vgpr7
	s_wait_loadcnt 0x0
	v_cmpx_ne_u32_e64 v15, v35
	s_cbranch_execz .LBB4_94
; %bb.96:                               ;   in Loop: Header=BB4_95 Depth=1
	v_add_nc_u64_e32 v[6:7], 1, v[12:13]
	v_add_nc_u64_e32 v[10:11], 4, v[10:11]
	s_and_not1_b32 s18, s18, exec_lo
	s_and_not1_b32 s17, s17, exec_lo
	s_delay_alu instid0(VALU_DEP_2) | instskip(SKIP_1) | instid1(SALU_CYCLE_1)
	v_cmp_ge_i32_e32 vcc_lo, v6, v14
	s_and_b32 s20, vcc_lo, exec_lo
	s_or_b32 s18, s18, s20
	s_branch .LBB4_94
.LBB4_97:
	s_or_b32 exec_lo, exec_lo, s7
	s_and_saveexec_b32 s7, s16
	s_delay_alu instid0(SALU_CYCLE_1)
	s_xor_b32 s7, exec_lo, s7
	s_cbranch_execz .LBB4_99
; %bb.98:
	v_lshl_add_u64 v[6:7], v[12:13], 3, s[12:13]
	v_add_nc_u32_e32 v16, 1, v16
	global_load_b64 v[6:7], v[6:7], off
	s_wait_loadcnt 0x0
	v_div_scale_f64 v[10:11], null, v[2:3], v[2:3], v[6:7]
	s_delay_alu instid0(VALU_DEP_1) | instskip(SKIP_1) | instid1(TRANS32_DEP_1)
	v_rcp_f64_e32 v[12:13], v[10:11]
	v_nop
	v_fma_f64 v[14:15], -v[10:11], v[12:13], 1.0
	s_delay_alu instid0(VALU_DEP_1) | instskip(NEXT) | instid1(VALU_DEP_1)
	v_fmac_f64_e32 v[12:13], v[12:13], v[14:15]
	v_fma_f64 v[14:15], -v[10:11], v[12:13], 1.0
	s_delay_alu instid0(VALU_DEP_1) | instskip(SKIP_1) | instid1(VALU_DEP_1)
	v_fmac_f64_e32 v[12:13], v[12:13], v[14:15]
	v_div_scale_f64 v[14:15], vcc_lo, v[6:7], v[2:3], v[6:7]
	v_mul_f64_e32 v[20:21], v[14:15], v[12:13]
	s_delay_alu instid0(VALU_DEP_1) | instskip(NEXT) | instid1(VALU_DEP_1)
	v_fma_f64 v[10:11], -v[10:11], v[20:21], v[14:15]
	v_div_fmas_f64 v[10:11], v[10:11], v[12:13], v[20:21]
	s_delay_alu instid0(VALU_DEP_1) | instskip(NEXT) | instid1(VALU_DEP_1)
	v_div_fixup_f64 v[2:3], v[10:11], v[2:3], v[6:7]
	v_add_f64_e32 v[8:9], v[8:9], v[2:3]
.LBB4_99:
	s_or_b32 exec_lo, exec_lo, s7
.LBB4_100:
	s_delay_alu instid0(SALU_CYCLE_1)
	s_or_b32 exec_lo, exec_lo, s5
.LBB4_101:
	s_delay_alu instid0(SALU_CYCLE_1)
	s_or_b32 exec_lo, exec_lo, s4
	global_load_b32 v2, v[4:5], off offset:4
	s_mov_b32 s4, exec_lo
	s_wait_loadcnt 0x0
	v_cmpx_lt_i32_e32 0, v2
	s_xor_b32 s4, exec_lo, s4
	s_cbranch_execz .LBB4_105
; %bb.102:
	s_mov_b32 s5, exec_lo
	v_cmpx_eq_u32_e64 v34, v2
	s_cbranch_execz .LBB4_104
; %bb.103:
	v_lshl_add_u64 v[2:3], v[22:23], 3, s[10:11]
	v_add_nc_u32_e32 v16, 1, v16
	global_load_b64 v[2:3], v[2:3], off offset:8
	s_wait_loadcnt 0x0
	v_div_scale_f64 v[4:5], null, v[0:1], v[0:1], v[2:3]
	s_delay_alu instid0(VALU_DEP_1) | instskip(SKIP_1) | instid1(TRANS32_DEP_1)
	v_rcp_f64_e32 v[6:7], v[4:5]
	v_nop
	v_fma_f64 v[10:11], -v[4:5], v[6:7], 1.0
	s_delay_alu instid0(VALU_DEP_1) | instskip(NEXT) | instid1(VALU_DEP_1)
	v_fmac_f64_e32 v[6:7], v[6:7], v[10:11]
	v_fma_f64 v[10:11], -v[4:5], v[6:7], 1.0
	s_delay_alu instid0(VALU_DEP_1) | instskip(SKIP_1) | instid1(VALU_DEP_1)
	v_fmac_f64_e32 v[6:7], v[6:7], v[10:11]
	v_div_scale_f64 v[10:11], vcc_lo, v[2:3], v[0:1], v[2:3]
	v_mul_f64_e32 v[12:13], v[10:11], v[6:7]
	s_delay_alu instid0(VALU_DEP_1) | instskip(NEXT) | instid1(VALU_DEP_1)
	v_fma_f64 v[4:5], -v[4:5], v[12:13], v[10:11]
	v_div_fmas_f64 v[4:5], v[4:5], v[6:7], v[12:13]
	s_delay_alu instid0(VALU_DEP_1) | instskip(NEXT) | instid1(VALU_DEP_1)
	v_div_fixup_f64 v[0:1], v[4:5], v[0:1], v[2:3]
	v_add_f64_e32 v[8:9], v[8:9], v[0:1]
.LBB4_104:
	s_or_b32 exec_lo, exec_lo, s5
                                        ; implicit-def: $vgpr2
                                        ; implicit-def: $vgpr0_vgpr1
                                        ; implicit-def: $vgpr35
.LBB4_105:
	s_or_saveexec_b32 s7, s4
	s_load_b64 s[4:5], s[0:1], 0x28
	s_xor_b32 exec_lo, exec_lo, s7
	s_cbranch_execz .LBB4_115
; %bb.106:
	v_dual_sub_nc_u32 v3, 0, v2 :: v_dual_sub_nc_u32 v4, 1, v2
	s_mov_b32 s17, 0
	s_mov_b32 s16, exec_lo
	s_clause 0x1
	global_load_b32 v2, v3, s[14:15] scale_offset
	global_load_b32 v10, v4, s[14:15] scale_offset
	s_wait_loadcnt 0x0
	v_cmpx_lt_i32_e64 v2, v10
	s_cbranch_execz .LBB4_114
; %bb.107:
	v_ashrrev_i32_e32 v3, 31, v2
                                        ; implicit-def: $sgpr18
                                        ; implicit-def: $sgpr20
                                        ; implicit-def: $sgpr19
	s_delay_alu instid0(VALU_DEP_1)
	v_lshl_add_u64 v[4:5], v[2:3], 2, s[8:9]
	s_branch .LBB4_109
.LBB4_108:                              ;   in Loop: Header=BB4_109 Depth=1
	s_or_b32 exec_lo, exec_lo, s21
	s_delay_alu instid0(SALU_CYCLE_1) | instskip(NEXT) | instid1(SALU_CYCLE_1)
	s_and_b32 s21, exec_lo, s20
	s_or_b32 s17, s21, s17
	s_and_not1_b32 s18, s18, exec_lo
	s_and_b32 s21, s19, exec_lo
	s_delay_alu instid0(SALU_CYCLE_1)
	s_or_b32 s18, s18, s21
	s_and_not1_b32 exec_lo, exec_lo, s17
	s_cbranch_execz .LBB4_111
.LBB4_109:                              ; =>This Inner Loop Header: Depth=1
	global_load_b32 v11, v[4:5], off
	v_mov_b64_e32 v[6:7], v[2:3]
	s_or_b32 s19, s19, exec_lo
	s_or_b32 s20, s20, exec_lo
	s_mov_b32 s21, exec_lo
                                        ; implicit-def: $vgpr2_vgpr3
	s_wait_loadcnt 0x0
	v_cmpx_ne_u32_e64 v11, v35
	s_cbranch_execz .LBB4_108
; %bb.110:                              ;   in Loop: Header=BB4_109 Depth=1
	v_add_nc_u64_e32 v[2:3], 1, v[6:7]
	v_add_nc_u64_e32 v[4:5], 4, v[4:5]
	s_and_not1_b32 s20, s20, exec_lo
	s_and_not1_b32 s19, s19, exec_lo
	s_delay_alu instid0(VALU_DEP_2) | instskip(SKIP_1) | instid1(SALU_CYCLE_1)
	v_cmp_ge_i32_e32 vcc_lo, v2, v10
	s_and_b32 s22, vcc_lo, exec_lo
	s_or_b32 s20, s20, s22
	s_branch .LBB4_108
.LBB4_111:
	s_or_b32 exec_lo, exec_lo, s17
	s_and_saveexec_b32 s17, s18
	s_delay_alu instid0(SALU_CYCLE_1)
	s_xor_b32 s17, exec_lo, s17
	s_cbranch_execz .LBB4_113
; %bb.112:
	v_lshl_add_u64 v[2:3], v[6:7], 3, s[12:13]
	v_add_nc_u32_e32 v16, 1, v16
	global_load_b64 v[2:3], v[2:3], off
	s_wait_loadcnt 0x0
	v_div_scale_f64 v[4:5], null, v[0:1], v[0:1], v[2:3]
	s_delay_alu instid0(VALU_DEP_1) | instskip(SKIP_1) | instid1(TRANS32_DEP_1)
	v_rcp_f64_e32 v[6:7], v[4:5]
	v_nop
	v_fma_f64 v[10:11], -v[4:5], v[6:7], 1.0
	s_delay_alu instid0(VALU_DEP_1) | instskip(NEXT) | instid1(VALU_DEP_1)
	v_fmac_f64_e32 v[6:7], v[6:7], v[10:11]
	v_fma_f64 v[10:11], -v[4:5], v[6:7], 1.0
	s_delay_alu instid0(VALU_DEP_1) | instskip(SKIP_1) | instid1(VALU_DEP_1)
	v_fmac_f64_e32 v[6:7], v[6:7], v[10:11]
	v_div_scale_f64 v[10:11], vcc_lo, v[2:3], v[0:1], v[2:3]
	v_mul_f64_e32 v[12:13], v[10:11], v[6:7]
	s_delay_alu instid0(VALU_DEP_1) | instskip(NEXT) | instid1(VALU_DEP_1)
	v_fma_f64 v[4:5], -v[4:5], v[12:13], v[10:11]
	v_div_fmas_f64 v[4:5], v[4:5], v[6:7], v[12:13]
	s_delay_alu instid0(VALU_DEP_1) | instskip(NEXT) | instid1(VALU_DEP_1)
	v_div_fixup_f64 v[0:1], v[4:5], v[0:1], v[2:3]
	v_add_f64_e32 v[8:9], v[8:9], v[0:1]
.LBB4_113:
	s_or_b32 exec_lo, exec_lo, s17
.LBB4_114:
	s_delay_alu instid0(SALU_CYCLE_1)
	s_or_b32 exec_lo, exec_lo, s16
.LBB4_115:
	s_delay_alu instid0(SALU_CYCLE_1) | instskip(SKIP_1) | instid1(VALU_DEP_1)
	s_or_b32 exec_lo, exec_lo, s7
	v_cvt_f64_u32_e32 v[0:1], v16
                                        ; implicit-def: $vgpr16_vgpr17
                                        ; implicit-def: $vgpr14_vgpr15
                                        ; implicit-def: $vgpr12_vgpr13
                                        ; implicit-def: $vgpr34
                                        ; implicit-def: $vgpr28
                                        ; implicit-def: $vgpr26_vgpr27
                                        ; implicit-def: $vgpr30
                                        ; implicit-def: $vgpr32
                                        ; implicit-def: $vgpr22_vgpr23
	v_div_scale_f64 v[2:3], null, v[0:1], v[0:1], v[8:9]
	s_delay_alu instid0(VALU_DEP_1) | instskip(SKIP_1) | instid1(TRANS32_DEP_1)
	v_rcp_f64_e32 v[4:5], v[2:3]
	v_nop
	v_fma_f64 v[6:7], -v[2:3], v[4:5], 1.0
	s_delay_alu instid0(VALU_DEP_1) | instskip(NEXT) | instid1(VALU_DEP_1)
	v_fmac_f64_e32 v[4:5], v[4:5], v[6:7]
	v_fma_f64 v[6:7], -v[2:3], v[4:5], 1.0
	s_delay_alu instid0(VALU_DEP_1) | instskip(SKIP_1) | instid1(VALU_DEP_1)
	v_fmac_f64_e32 v[4:5], v[4:5], v[6:7]
	v_div_scale_f64 v[6:7], vcc_lo, v[8:9], v[0:1], v[8:9]
	v_mul_f64_e32 v[10:11], v[6:7], v[4:5]
	s_delay_alu instid0(VALU_DEP_1) | instskip(NEXT) | instid1(VALU_DEP_1)
	v_fma_f64 v[2:3], -v[2:3], v[10:11], v[6:7]
                                        ; implicit-def: $vgpr6_vgpr7
	v_div_fmas_f64 v[2:3], v[2:3], v[4:5], v[10:11]
                                        ; implicit-def: $vgpr10_vgpr11
                                        ; implicit-def: $vgpr4_vgpr5
	s_delay_alu instid0(VALU_DEP_1)
	v_div_fixup_f64 v[0:1], v[2:3], v[0:1], v[8:9]
	s_wait_kmcnt 0x0
	v_lshl_add_u64 v[2:3], v[18:19], 3, s[4:5]
                                        ; implicit-def: $vgpr8_vgpr9
                                        ; implicit-def: $vgpr18_vgpr19
	global_store_b64 v[2:3], v[0:1], off
                                        ; implicit-def: $vgpr2_vgpr3
                                        ; implicit-def: $vgpr0_vgpr1
.LBB4_116:
	s_wait_xcnt 0x0
	s_and_not1_saveexec_b32 s4, s6
	s_cbranch_execz .LBB4_238
; %bb.117:
	v_dual_sub_nc_u32 v21, 0, v34 :: v_dual_sub_nc_u32 v24, 1, v34
	s_mov_b32 s18, 0
	s_clause 0x1
	global_load_b32 v20, v21, s[14:15] scale_offset
	global_load_b32 v76, v24, s[14:15] scale_offset
	s_wait_loadcnt 0x0
	v_cmp_lt_i32_e32 vcc_lo, v20, v76
	s_wait_xcnt 0x0
	s_and_b32 exec_lo, exec_lo, vcc_lo
	s_cbranch_execz .LBB4_238
; %bb.118:
	v_lshl_add_u64 v[24:25], v[18:19], 2, s[2:3]
	v_dual_ashrrev_i32 v29, 31, v28 :: v_dual_ashrrev_i32 v31, 31, v30
	v_lshl_add_u64 v[34:35], v[22:23], 2, s[2:3]
	v_dual_ashrrev_i32 v33, 31, v32 :: v_dual_mov_b32 v65, 0
	global_load_b32 v42, v[24:25], off offset:4
	s_wait_xcnt 0x0
	v_lshl_add_u64 v[24:25], v[28:29], 2, s[2:3]
	s_load_b64 s[16:17], s[0:1], 0x30
	s_clause 0x1
	global_load_b64 v[56:57], v[34:35], off
	global_load_b32 v36, v[24:25], off
	s_wait_xcnt 0x0
	v_lshl_add_u64 v[24:25], v[26:27], 2, s[2:3]
	v_ashrrev_i32_e32 v21, 31, v20
	v_lshl_add_u64 v[18:19], v[18:19], 3, s[10:11]
	v_lshl_add_u64 v[22:23], v[22:23], 3, s[10:11]
	global_load_b64 v[38:39], v[24:25], off
	s_wait_xcnt 0x0
	v_lshl_add_u64 v[24:25], v[30:31], 2, s[2:3]
	global_load_b32 v40, v[24:25], off
	s_wait_xcnt 0x0
	v_lshl_add_u64 v[24:25], v[32:33], 2, s[2:3]
	global_load_b32 v46, v[24:25], off
	s_wait_xcnt 0x0
	v_lshl_add_u64 v[24:25], v[26:27], 3, s[10:11]
	v_lshl_add_u64 v[26:27], v[28:29], 3, s[10:11]
	;; [unrolled: 1-line block ×4, first 2 shown]
	s_wait_loadcnt 0x5
	v_sub_nc_u32_e32 v44, 1, v42
	v_cmp_lt_i32_e64 s0, 0, v42
	v_add_nc_u32_e32 v77, -1, v42
	v_mov_b64_e32 v[32:33], v[20:21]
	s_wait_loadcnt 0x3
	v_dual_sub_nc_u32 v50, 1, v57 :: v_dual_sub_nc_u32 v64, 0, v36
	v_cmp_lt_i32_e64 s3, 0, v36
	v_dual_add_nc_u32 v80, -1, v36 :: v_dual_sub_nc_u32 v52, 1, v36
	v_add_nc_u32_e32 v78, -1, v56
	s_delay_alu instid0(VALU_DEP_4)
	v_lshl_add_u64 v[34:35], v[64:65], 2, s[14:15]
	s_wait_loadcnt 0x2
	v_dual_sub_nc_u32 v64, 0, v38 :: v_dual_add_nc_u32 v81, -1, v38
	v_sub_nc_u32_e32 v58, 1, v38
	v_cmp_lt_i32_e64 s4, 0, v38
	v_cmp_lt_i32_e64 s5, 0, v39
	s_delay_alu instid0(VALU_DEP_4) | instskip(SKIP_4) | instid1(VALU_DEP_3)
	v_lshl_add_u64 v[36:37], v[64:65], 2, s[14:15]
	v_dual_sub_nc_u32 v64, 0, v39 :: v_dual_add_nc_u32 v82, -1, v39
	s_wait_loadcnt 0x1
	v_dual_sub_nc_u32 v60, 1, v39 :: v_dual_add_nc_u32 v83, -1, v40
	v_cmp_lt_i32_e64 s6, 0, v40
	v_lshl_add_u64 v[38:39], v[64:65], 2, s[14:15]
	v_dual_sub_nc_u32 v64, 0, v40 :: v_dual_sub_nc_u32 v62, 1, v40
	s_wait_loadcnt 0x0
	v_dual_add_nc_u32 v84, -1, v46 :: v_dual_ashrrev_i32 v45, 31, v44
	v_dual_sub_nc_u32 v48, 1, v56 :: v_dual_add_nc_u32 v79, -1, v57
	s_delay_alu instid0(VALU_DEP_3) | instskip(SKIP_2) | instid1(VALU_DEP_4)
	v_lshl_add_u64 v[40:41], v[64:65], 2, s[14:15]
	v_sub_nc_u32_e32 v64, 0, v42
	v_cmp_lt_i32_e64 s7, 0, v46
	v_dual_sub_nc_u32 v66, 1, v46 :: v_dual_ashrrev_i32 v49, 31, v48
	v_ashrrev_i32_e32 v59, 31, v58
	s_delay_alu instid0(VALU_DEP_4) | instskip(SKIP_3) | instid1(VALU_DEP_3)
	v_lshl_add_u64 v[42:43], v[64:65], 2, s[14:15]
	v_dual_sub_nc_u32 v64, 0, v46 :: v_dual_ashrrev_i32 v61, 31, v60
	v_dual_ashrrev_i32 v51, 31, v50 :: v_dual_ashrrev_i32 v53, 31, v52
	v_ashrrev_i32_e32 v63, 31, v62
	v_lshl_add_u64 v[46:47], v[64:65], 2, s[14:15]
	v_dual_sub_nc_u32 v64, 0, v56 :: v_dual_ashrrev_i32 v67, 31, v66
	v_cmp_lt_i32_e64 s1, 0, v56
	v_cmp_lt_i32_e64 s2, 0, v57
	v_lshl_add_u64 v[44:45], v[44:45], 2, s[14:15]
	s_delay_alu instid0(VALU_DEP_4)
	v_lshl_add_u64 v[54:55], v[64:65], 2, s[14:15]
	v_sub_nc_u32_e32 v64, 0, v57
	v_lshl_add_u64 v[48:49], v[48:49], 2, s[14:15]
	v_lshl_add_u64 v[50:51], v[50:51], 2, s[14:15]
	;; [unrolled: 1-line block ×9, first 2 shown]
	s_branch .LBB4_122
.LBB4_119:                              ;   in Loop: Header=BB4_122 Depth=1
	s_or_b32 exec_lo, exec_lo, s14
.LBB4_120:                              ;   in Loop: Header=BB4_122 Depth=1
	s_delay_alu instid0(SALU_CYCLE_1)
	s_or_b32 exec_lo, exec_lo, s11
.LBB4_121:                              ;   in Loop: Header=BB4_122 Depth=1
	s_delay_alu instid0(SALU_CYCLE_1) | instskip(SKIP_1) | instid1(VALU_DEP_1)
	s_or_b32 exec_lo, exec_lo, s10
	v_cvt_f64_u32_e32 v[70:71], v86
	v_div_scale_f64 v[72:73], null, v[70:71], v[70:71], v[68:69]
	s_delay_alu instid0(VALU_DEP_1) | instskip(SKIP_1) | instid1(TRANS32_DEP_1)
	v_rcp_f64_e32 v[74:75], v[72:73]
	v_nop
	v_fma_f64 v[86:87], -v[72:73], v[74:75], 1.0
	s_delay_alu instid0(VALU_DEP_1) | instskip(NEXT) | instid1(VALU_DEP_1)
	v_fmac_f64_e32 v[74:75], v[74:75], v[86:87]
	v_fma_f64 v[86:87], -v[72:73], v[74:75], 1.0
	s_delay_alu instid0(VALU_DEP_1) | instskip(SKIP_1) | instid1(VALU_DEP_1)
	v_fmac_f64_e32 v[74:75], v[74:75], v[86:87]
	v_div_scale_f64 v[86:87], vcc_lo, v[68:69], v[70:71], v[68:69]
	v_mul_f64_e32 v[88:89], v[86:87], v[74:75]
	s_delay_alu instid0(VALU_DEP_1) | instskip(NEXT) | instid1(VALU_DEP_1)
	v_fma_f64 v[72:73], -v[72:73], v[88:89], v[86:87]
	v_div_fmas_f64 v[72:73], v[72:73], v[74:75], v[88:89]
	s_delay_alu instid0(VALU_DEP_1) | instskip(SKIP_3) | instid1(VALU_DEP_1)
	v_div_fixup_f64 v[68:69], v[72:73], v[70:71], v[68:69]
	s_wait_kmcnt 0x0
	v_lshl_add_u64 v[70:71], v[20:21], 3, s[16:17]
	v_add_nc_u32_e32 v20, 1, v20
	v_cmp_ge_i32_e32 vcc_lo, v20, v76
	s_or_b32 s18, vcc_lo, s18
	global_store_b64 v[70:71], v[68:69], off
	s_wait_xcnt 0x0
	s_and_not1_b32 exec_lo, exec_lo, s18
	s_cbranch_execz .LBB4_238
.LBB4_122:                              ; =>This Loop Header: Depth=1
                                        ;     Child Loop BB4_136 Depth 2
                                        ;     Child Loop BB4_148 Depth 2
	;; [unrolled: 1-line block ×9, first 2 shown]
	global_load_b32 v85, v20, s[8:9] scale_offset
                                        ; implicit-def: $vgpr68_vgpr69
                                        ; implicit-def: $vgpr86
	s_wait_xcnt 0x0
	s_and_saveexec_b32 s10, s3
	s_delay_alu instid0(SALU_CYCLE_1)
	s_xor_b32 s10, exec_lo, s10
	s_cbranch_execnz .LBB4_130
; %bb.123:                              ;   in Loop: Header=BB4_122 Depth=1
	s_and_not1_saveexec_b32 s10, s10
	s_cbranch_execnz .LBB4_133
.LBB4_124:                              ;   in Loop: Header=BB4_122 Depth=1
	s_or_b32 exec_lo, exec_lo, s10
	s_and_saveexec_b32 s10, s4
	s_delay_alu instid0(SALU_CYCLE_1)
	s_xor_b32 s10, exec_lo, s10
	s_cbranch_execnz .LBB4_142
.LBB4_125:                              ;   in Loop: Header=BB4_122 Depth=1
	s_and_not1_saveexec_b32 s10, s10
	s_cbranch_execnz .LBB4_145
.LBB4_126:                              ;   in Loop: Header=BB4_122 Depth=1
	s_or_b32 exec_lo, exec_lo, s10
	s_and_saveexec_b32 s10, s5
	s_delay_alu instid0(SALU_CYCLE_1)
	s_xor_b32 s10, exec_lo, s10
	s_cbranch_execnz .LBB4_154
.LBB4_127:                              ;   in Loop: Header=BB4_122 Depth=1
	s_and_not1_saveexec_b32 s10, s10
	s_cbranch_execnz .LBB4_157
.LBB4_128:                              ;   in Loop: Header=BB4_122 Depth=1
	s_or_b32 exec_lo, exec_lo, s10
	s_and_saveexec_b32 s10, s6
	s_delay_alu instid0(SALU_CYCLE_1)
	s_xor_b32 s10, exec_lo, s10
	s_cbranch_execnz .LBB4_166
.LBB4_129:                              ;   in Loop: Header=BB4_122 Depth=1
	s_and_not1_saveexec_b32 s10, s10
	s_cbranch_execnz .LBB4_169
	s_branch .LBB4_178
.LBB4_130:                              ;   in Loop: Header=BB4_122 Depth=1
	v_mov_b64_e32 v[68:69], 0
	v_mov_b32_e32 v86, 0
	s_mov_b32 s11, exec_lo
	s_wait_loadcnt 0x0
	v_cmpx_eq_u32_e64 v85, v80
	s_cbranch_execz .LBB4_132
; %bb.131:                              ;   in Loop: Header=BB4_122 Depth=1
	global_load_b64 v[68:69], v[26:27], off
	s_wait_loadcnt 0x0
	v_div_scale_f64 v[70:71], null, v[16:17], v[16:17], v[68:69]
	s_delay_alu instid0(VALU_DEP_1) | instskip(SKIP_1) | instid1(TRANS32_DEP_1)
	v_rcp_f64_e32 v[72:73], v[70:71]
	v_nop
	v_fma_f64 v[74:75], -v[70:71], v[72:73], 1.0
	s_delay_alu instid0(VALU_DEP_1) | instskip(NEXT) | instid1(VALU_DEP_1)
	v_fmac_f64_e32 v[72:73], v[72:73], v[74:75]
	v_fma_f64 v[74:75], -v[70:71], v[72:73], 1.0
	s_delay_alu instid0(VALU_DEP_1) | instskip(SKIP_1) | instid1(VALU_DEP_1)
	v_fmac_f64_e32 v[72:73], v[72:73], v[74:75]
	v_div_scale_f64 v[74:75], vcc_lo, v[68:69], v[16:17], v[68:69]
	v_mul_f64_e32 v[86:87], v[74:75], v[72:73]
	s_delay_alu instid0(VALU_DEP_1) | instskip(NEXT) | instid1(VALU_DEP_1)
	v_fma_f64 v[70:71], -v[70:71], v[86:87], v[74:75]
	v_div_fmas_f64 v[70:71], v[70:71], v[72:73], v[86:87]
	v_mov_b32_e32 v86, 1
	s_delay_alu instid0(VALU_DEP_2) | instskip(NEXT) | instid1(VALU_DEP_1)
	v_div_fixup_f64 v[68:69], v[70:71], v[16:17], v[68:69]
	v_add_f64_e32 v[68:69], 0, v[68:69]
.LBB4_132:                              ;   in Loop: Header=BB4_122 Depth=1
	s_wait_xcnt 0x0
	s_or_b32 exec_lo, exec_lo, s11
	s_and_not1_saveexec_b32 s10, s10
	s_cbranch_execz .LBB4_124
.LBB4_133:                              ;   in Loop: Header=BB4_122 Depth=1
	s_clause 0x1
	global_load_b32 v70, v[34:35], off
	global_load_b32 v21, v[52:53], off
	v_mov_b64_e32 v[68:69], 0
	v_mov_b32_e32 v86, 0
	s_mov_b32 s11, exec_lo
	s_wait_loadcnt 0x0
	v_cmpx_lt_i32_e64 v70, v21
	s_cbranch_execz .LBB4_141
; %bb.134:                              ;   in Loop: Header=BB4_122 Depth=1
	v_ashrrev_i32_e32 v71, 31, v70
	s_mov_b32 s15, 0
                                        ; implicit-def: $sgpr14
                                        ; implicit-def: $sgpr20
                                        ; implicit-def: $sgpr19
	s_delay_alu instid0(VALU_DEP_1)
	v_lshl_add_u64 v[68:69], v[70:71], 2, s[8:9]
	s_branch .LBB4_136
.LBB4_135:                              ;   in Loop: Header=BB4_136 Depth=2
	s_or_b32 exec_lo, exec_lo, s21
	s_delay_alu instid0(SALU_CYCLE_1) | instskip(NEXT) | instid1(SALU_CYCLE_1)
	s_and_b32 s21, exec_lo, s20
	s_or_b32 s15, s21, s15
	s_and_not1_b32 s14, s14, exec_lo
	s_and_b32 s21, s19, exec_lo
	s_delay_alu instid0(SALU_CYCLE_1)
	s_or_b32 s14, s14, s21
	s_and_not1_b32 exec_lo, exec_lo, s15
	s_cbranch_execz .LBB4_138
.LBB4_136:                              ;   Parent Loop BB4_122 Depth=1
                                        ; =>  This Inner Loop Header: Depth=2
	global_load_b32 v74, v[68:69], off
	v_mov_b64_e32 v[72:73], v[70:71]
	s_or_b32 s19, s19, exec_lo
	s_or_b32 s20, s20, exec_lo
	s_mov_b32 s21, exec_lo
                                        ; implicit-def: $vgpr70_vgpr71
	s_wait_loadcnt 0x0
	v_cmpx_ne_u32_e64 v74, v85
	s_cbranch_execz .LBB4_135
; %bb.137:                              ;   in Loop: Header=BB4_136 Depth=2
	v_add_nc_u64_e32 v[70:71], 1, v[72:73]
	v_add_nc_u64_e32 v[68:69], 4, v[68:69]
	s_and_not1_b32 s20, s20, exec_lo
	s_and_not1_b32 s19, s19, exec_lo
	s_delay_alu instid0(VALU_DEP_2) | instskip(SKIP_1) | instid1(SALU_CYCLE_1)
	v_cmp_ge_i32_e32 vcc_lo, v70, v21
	s_and_b32 s22, vcc_lo, exec_lo
	s_or_b32 s20, s20, s22
	s_branch .LBB4_135
.LBB4_138:                              ;   in Loop: Header=BB4_122 Depth=1
	s_or_b32 exec_lo, exec_lo, s15
	v_mov_b64_e32 v[68:69], 0
	v_mov_b32_e32 v86, 0
	s_and_saveexec_b32 s15, s14
	s_delay_alu instid0(SALU_CYCLE_1)
	s_xor_b32 s14, exec_lo, s15
	s_cbranch_execz .LBB4_140
; %bb.139:                              ;   in Loop: Header=BB4_122 Depth=1
	v_lshl_add_u64 v[68:69], v[72:73], 3, s[12:13]
	global_load_b64 v[68:69], v[68:69], off
	s_wait_loadcnt 0x0
	v_div_scale_f64 v[70:71], null, v[16:17], v[16:17], v[68:69]
	s_delay_alu instid0(VALU_DEP_1) | instskip(SKIP_1) | instid1(TRANS32_DEP_1)
	v_rcp_f64_e32 v[72:73], v[70:71]
	v_nop
	v_fma_f64 v[74:75], -v[70:71], v[72:73], 1.0
	s_delay_alu instid0(VALU_DEP_1) | instskip(NEXT) | instid1(VALU_DEP_1)
	v_fmac_f64_e32 v[72:73], v[72:73], v[74:75]
	v_fma_f64 v[74:75], -v[70:71], v[72:73], 1.0
	s_delay_alu instid0(VALU_DEP_1) | instskip(SKIP_1) | instid1(VALU_DEP_1)
	v_fmac_f64_e32 v[72:73], v[72:73], v[74:75]
	v_div_scale_f64 v[74:75], vcc_lo, v[68:69], v[16:17], v[68:69]
	v_mul_f64_e32 v[86:87], v[74:75], v[72:73]
	s_delay_alu instid0(VALU_DEP_1) | instskip(NEXT) | instid1(VALU_DEP_1)
	v_fma_f64 v[70:71], -v[70:71], v[86:87], v[74:75]
	v_div_fmas_f64 v[70:71], v[70:71], v[72:73], v[86:87]
	v_mov_b32_e32 v86, 1
	s_wait_xcnt 0x0
	s_delay_alu instid0(VALU_DEP_2) | instskip(NEXT) | instid1(VALU_DEP_1)
	v_div_fixup_f64 v[68:69], v[70:71], v[16:17], v[68:69]
	v_add_f64_e32 v[68:69], 0, v[68:69]
.LBB4_140:                              ;   in Loop: Header=BB4_122 Depth=1
	s_or_b32 exec_lo, exec_lo, s14
.LBB4_141:                              ;   in Loop: Header=BB4_122 Depth=1
	s_delay_alu instid0(SALU_CYCLE_1) | instskip(NEXT) | instid1(SALU_CYCLE_1)
	s_or_b32 exec_lo, exec_lo, s11
	s_or_b32 exec_lo, exec_lo, s10
	s_and_saveexec_b32 s10, s4
	s_delay_alu instid0(SALU_CYCLE_1)
	s_xor_b32 s10, exec_lo, s10
	s_cbranch_execz .LBB4_125
.LBB4_142:                              ;   in Loop: Header=BB4_122 Depth=1
	s_mov_b32 s11, exec_lo
	s_wait_loadcnt 0x0
	v_cmpx_eq_u32_e64 v85, v81
	s_cbranch_execz .LBB4_144
; %bb.143:                              ;   in Loop: Header=BB4_122 Depth=1
	global_load_b64 v[70:71], v[24:25], off
	v_add_nc_u32_e32 v86, 1, v86
	s_wait_loadcnt 0x0
	v_div_scale_f64 v[72:73], null, v[14:15], v[14:15], v[70:71]
	s_delay_alu instid0(VALU_DEP_1) | instskip(SKIP_1) | instid1(TRANS32_DEP_1)
	v_rcp_f64_e32 v[74:75], v[72:73]
	v_nop
	v_fma_f64 v[88:89], -v[72:73], v[74:75], 1.0
	s_delay_alu instid0(VALU_DEP_1) | instskip(NEXT) | instid1(VALU_DEP_1)
	v_fmac_f64_e32 v[74:75], v[74:75], v[88:89]
	v_fma_f64 v[88:89], -v[72:73], v[74:75], 1.0
	s_delay_alu instid0(VALU_DEP_1) | instskip(SKIP_1) | instid1(VALU_DEP_1)
	v_fmac_f64_e32 v[74:75], v[74:75], v[88:89]
	v_div_scale_f64 v[88:89], vcc_lo, v[70:71], v[14:15], v[70:71]
	v_mul_f64_e32 v[90:91], v[88:89], v[74:75]
	s_delay_alu instid0(VALU_DEP_1) | instskip(NEXT) | instid1(VALU_DEP_1)
	v_fma_f64 v[72:73], -v[72:73], v[90:91], v[88:89]
	v_div_fmas_f64 v[72:73], v[72:73], v[74:75], v[90:91]
	s_delay_alu instid0(VALU_DEP_1) | instskip(NEXT) | instid1(VALU_DEP_1)
	v_div_fixup_f64 v[70:71], v[72:73], v[14:15], v[70:71]
	v_add_f64_e32 v[68:69], v[68:69], v[70:71]
.LBB4_144:                              ;   in Loop: Header=BB4_122 Depth=1
	s_wait_xcnt 0x0
	s_or_b32 exec_lo, exec_lo, s11
	s_and_not1_saveexec_b32 s10, s10
	s_cbranch_execz .LBB4_126
.LBB4_145:                              ;   in Loop: Header=BB4_122 Depth=1
	s_clause 0x1
	global_load_b32 v70, v[36:37], off
	global_load_b32 v21, v[56:57], off
	s_mov_b32 s11, exec_lo
	s_wait_loadcnt 0x0
	v_cmpx_lt_i32_e64 v70, v21
	s_cbranch_execz .LBB4_153
; %bb.146:                              ;   in Loop: Header=BB4_122 Depth=1
	v_ashrrev_i32_e32 v71, 31, v70
	s_mov_b32 s15, 0
                                        ; implicit-def: $sgpr14
                                        ; implicit-def: $sgpr20
                                        ; implicit-def: $sgpr19
	s_delay_alu instid0(VALU_DEP_1)
	v_lshl_add_u64 v[72:73], v[70:71], 2, s[8:9]
	s_branch .LBB4_148
.LBB4_147:                              ;   in Loop: Header=BB4_148 Depth=2
	s_or_b32 exec_lo, exec_lo, s21
	s_delay_alu instid0(SALU_CYCLE_1) | instskip(NEXT) | instid1(SALU_CYCLE_1)
	s_and_b32 s21, exec_lo, s20
	s_or_b32 s15, s21, s15
	s_and_not1_b32 s14, s14, exec_lo
	s_and_b32 s21, s19, exec_lo
	s_delay_alu instid0(SALU_CYCLE_1)
	s_or_b32 s14, s14, s21
	s_and_not1_b32 exec_lo, exec_lo, s15
	s_cbranch_execz .LBB4_150
.LBB4_148:                              ;   Parent Loop BB4_122 Depth=1
                                        ; =>  This Inner Loop Header: Depth=2
	global_load_b32 v87, v[72:73], off
	v_mov_b64_e32 v[74:75], v[70:71]
	s_or_b32 s19, s19, exec_lo
	s_or_b32 s20, s20, exec_lo
	s_mov_b32 s21, exec_lo
                                        ; implicit-def: $vgpr70_vgpr71
	s_wait_loadcnt 0x0
	v_cmpx_ne_u32_e64 v87, v85
	s_cbranch_execz .LBB4_147
; %bb.149:                              ;   in Loop: Header=BB4_148 Depth=2
	v_add_nc_u64_e32 v[70:71], 1, v[74:75]
	v_add_nc_u64_e32 v[72:73], 4, v[72:73]
	s_and_not1_b32 s20, s20, exec_lo
	s_and_not1_b32 s19, s19, exec_lo
	s_delay_alu instid0(VALU_DEP_2) | instskip(SKIP_1) | instid1(SALU_CYCLE_1)
	v_cmp_ge_i32_e32 vcc_lo, v70, v21
	s_and_b32 s22, vcc_lo, exec_lo
	s_or_b32 s20, s20, s22
	s_branch .LBB4_147
.LBB4_150:                              ;   in Loop: Header=BB4_122 Depth=1
	s_or_b32 exec_lo, exec_lo, s15
	s_and_saveexec_b32 s15, s14
	s_delay_alu instid0(SALU_CYCLE_1)
	s_xor_b32 s14, exec_lo, s15
	s_cbranch_execz .LBB4_152
; %bb.151:                              ;   in Loop: Header=BB4_122 Depth=1
	v_lshl_add_u64 v[70:71], v[74:75], 3, s[12:13]
	v_add_nc_u32_e32 v86, 1, v86
	global_load_b64 v[70:71], v[70:71], off
	s_wait_loadcnt 0x0
	v_div_scale_f64 v[72:73], null, v[14:15], v[14:15], v[70:71]
	s_delay_alu instid0(VALU_DEP_1) | instskip(SKIP_1) | instid1(TRANS32_DEP_1)
	v_rcp_f64_e32 v[74:75], v[72:73]
	v_nop
	v_fma_f64 v[88:89], -v[72:73], v[74:75], 1.0
	s_delay_alu instid0(VALU_DEP_1) | instskip(NEXT) | instid1(VALU_DEP_1)
	v_fmac_f64_e32 v[74:75], v[74:75], v[88:89]
	v_fma_f64 v[88:89], -v[72:73], v[74:75], 1.0
	s_delay_alu instid0(VALU_DEP_1) | instskip(SKIP_1) | instid1(VALU_DEP_1)
	v_fmac_f64_e32 v[74:75], v[74:75], v[88:89]
	v_div_scale_f64 v[88:89], vcc_lo, v[70:71], v[14:15], v[70:71]
	v_mul_f64_e32 v[90:91], v[88:89], v[74:75]
	s_delay_alu instid0(VALU_DEP_1) | instskip(NEXT) | instid1(VALU_DEP_1)
	v_fma_f64 v[72:73], -v[72:73], v[90:91], v[88:89]
	v_div_fmas_f64 v[72:73], v[72:73], v[74:75], v[90:91]
	s_wait_xcnt 0x0
	s_delay_alu instid0(VALU_DEP_1) | instskip(NEXT) | instid1(VALU_DEP_1)
	v_div_fixup_f64 v[70:71], v[72:73], v[14:15], v[70:71]
	v_add_f64_e32 v[68:69], v[68:69], v[70:71]
.LBB4_152:                              ;   in Loop: Header=BB4_122 Depth=1
	s_or_b32 exec_lo, exec_lo, s14
.LBB4_153:                              ;   in Loop: Header=BB4_122 Depth=1
	s_delay_alu instid0(SALU_CYCLE_1) | instskip(NEXT) | instid1(SALU_CYCLE_1)
	s_or_b32 exec_lo, exec_lo, s11
	s_or_b32 exec_lo, exec_lo, s10
	s_and_saveexec_b32 s10, s5
	s_delay_alu instid0(SALU_CYCLE_1)
	s_xor_b32 s10, exec_lo, s10
	s_cbranch_execz .LBB4_127
.LBB4_154:                              ;   in Loop: Header=BB4_122 Depth=1
	s_mov_b32 s11, exec_lo
	s_wait_loadcnt 0x0
	v_cmpx_eq_u32_e64 v85, v82
	s_cbranch_execz .LBB4_156
; %bb.155:                              ;   in Loop: Header=BB4_122 Depth=1
	global_load_b64 v[70:71], v[24:25], off offset:8
	v_add_nc_u32_e32 v86, 1, v86
	s_wait_loadcnt 0x0
	v_div_scale_f64 v[72:73], null, v[12:13], v[12:13], v[70:71]
	s_delay_alu instid0(VALU_DEP_1) | instskip(SKIP_1) | instid1(TRANS32_DEP_1)
	v_rcp_f64_e32 v[74:75], v[72:73]
	v_nop
	v_fma_f64 v[88:89], -v[72:73], v[74:75], 1.0
	s_delay_alu instid0(VALU_DEP_1) | instskip(NEXT) | instid1(VALU_DEP_1)
	v_fmac_f64_e32 v[74:75], v[74:75], v[88:89]
	v_fma_f64 v[88:89], -v[72:73], v[74:75], 1.0
	s_delay_alu instid0(VALU_DEP_1) | instskip(SKIP_1) | instid1(VALU_DEP_1)
	v_fmac_f64_e32 v[74:75], v[74:75], v[88:89]
	v_div_scale_f64 v[88:89], vcc_lo, v[70:71], v[12:13], v[70:71]
	v_mul_f64_e32 v[90:91], v[88:89], v[74:75]
	s_delay_alu instid0(VALU_DEP_1) | instskip(NEXT) | instid1(VALU_DEP_1)
	v_fma_f64 v[72:73], -v[72:73], v[90:91], v[88:89]
	v_div_fmas_f64 v[72:73], v[72:73], v[74:75], v[90:91]
	s_delay_alu instid0(VALU_DEP_1) | instskip(NEXT) | instid1(VALU_DEP_1)
	v_div_fixup_f64 v[70:71], v[72:73], v[12:13], v[70:71]
	v_add_f64_e32 v[68:69], v[68:69], v[70:71]
.LBB4_156:                              ;   in Loop: Header=BB4_122 Depth=1
	s_wait_xcnt 0x0
	s_or_b32 exec_lo, exec_lo, s11
	s_and_not1_saveexec_b32 s10, s10
	s_cbranch_execz .LBB4_128
.LBB4_157:                              ;   in Loop: Header=BB4_122 Depth=1
	s_clause 0x1
	global_load_b32 v70, v[38:39], off
	global_load_b32 v21, v[58:59], off
	s_mov_b32 s11, exec_lo
	s_wait_loadcnt 0x0
	v_cmpx_lt_i32_e64 v70, v21
	s_cbranch_execz .LBB4_165
; %bb.158:                              ;   in Loop: Header=BB4_122 Depth=1
	v_ashrrev_i32_e32 v71, 31, v70
	s_mov_b32 s15, 0
                                        ; implicit-def: $sgpr14
                                        ; implicit-def: $sgpr20
                                        ; implicit-def: $sgpr19
	s_delay_alu instid0(VALU_DEP_1)
	v_lshl_add_u64 v[72:73], v[70:71], 2, s[8:9]
	s_branch .LBB4_160
.LBB4_159:                              ;   in Loop: Header=BB4_160 Depth=2
	s_or_b32 exec_lo, exec_lo, s21
	s_delay_alu instid0(SALU_CYCLE_1) | instskip(NEXT) | instid1(SALU_CYCLE_1)
	s_and_b32 s21, exec_lo, s20
	s_or_b32 s15, s21, s15
	s_and_not1_b32 s14, s14, exec_lo
	s_and_b32 s21, s19, exec_lo
	s_delay_alu instid0(SALU_CYCLE_1)
	s_or_b32 s14, s14, s21
	s_and_not1_b32 exec_lo, exec_lo, s15
	s_cbranch_execz .LBB4_162
.LBB4_160:                              ;   Parent Loop BB4_122 Depth=1
                                        ; =>  This Inner Loop Header: Depth=2
	global_load_b32 v87, v[72:73], off
	v_mov_b64_e32 v[74:75], v[70:71]
	s_or_b32 s19, s19, exec_lo
	s_or_b32 s20, s20, exec_lo
	s_mov_b32 s21, exec_lo
                                        ; implicit-def: $vgpr70_vgpr71
	s_wait_loadcnt 0x0
	v_cmpx_ne_u32_e64 v87, v85
	s_cbranch_execz .LBB4_159
; %bb.161:                              ;   in Loop: Header=BB4_160 Depth=2
	v_add_nc_u64_e32 v[70:71], 1, v[74:75]
	v_add_nc_u64_e32 v[72:73], 4, v[72:73]
	s_and_not1_b32 s20, s20, exec_lo
	s_and_not1_b32 s19, s19, exec_lo
	s_delay_alu instid0(VALU_DEP_2) | instskip(SKIP_1) | instid1(SALU_CYCLE_1)
	v_cmp_ge_i32_e32 vcc_lo, v70, v21
	s_and_b32 s22, vcc_lo, exec_lo
	s_or_b32 s20, s20, s22
	s_branch .LBB4_159
.LBB4_162:                              ;   in Loop: Header=BB4_122 Depth=1
	s_or_b32 exec_lo, exec_lo, s15
	s_and_saveexec_b32 s15, s14
	s_delay_alu instid0(SALU_CYCLE_1)
	s_xor_b32 s14, exec_lo, s15
	s_cbranch_execz .LBB4_164
; %bb.163:                              ;   in Loop: Header=BB4_122 Depth=1
	v_lshl_add_u64 v[70:71], v[74:75], 3, s[12:13]
	v_add_nc_u32_e32 v86, 1, v86
	global_load_b64 v[70:71], v[70:71], off
	s_wait_loadcnt 0x0
	v_div_scale_f64 v[72:73], null, v[12:13], v[12:13], v[70:71]
	s_delay_alu instid0(VALU_DEP_1) | instskip(SKIP_1) | instid1(TRANS32_DEP_1)
	v_rcp_f64_e32 v[74:75], v[72:73]
	v_nop
	v_fma_f64 v[88:89], -v[72:73], v[74:75], 1.0
	s_delay_alu instid0(VALU_DEP_1) | instskip(NEXT) | instid1(VALU_DEP_1)
	v_fmac_f64_e32 v[74:75], v[74:75], v[88:89]
	v_fma_f64 v[88:89], -v[72:73], v[74:75], 1.0
	s_delay_alu instid0(VALU_DEP_1) | instskip(SKIP_1) | instid1(VALU_DEP_1)
	v_fmac_f64_e32 v[74:75], v[74:75], v[88:89]
	v_div_scale_f64 v[88:89], vcc_lo, v[70:71], v[12:13], v[70:71]
	v_mul_f64_e32 v[90:91], v[88:89], v[74:75]
	s_delay_alu instid0(VALU_DEP_1) | instskip(NEXT) | instid1(VALU_DEP_1)
	v_fma_f64 v[72:73], -v[72:73], v[90:91], v[88:89]
	v_div_fmas_f64 v[72:73], v[72:73], v[74:75], v[90:91]
	s_wait_xcnt 0x0
	s_delay_alu instid0(VALU_DEP_1) | instskip(NEXT) | instid1(VALU_DEP_1)
	v_div_fixup_f64 v[70:71], v[72:73], v[12:13], v[70:71]
	v_add_f64_e32 v[68:69], v[68:69], v[70:71]
.LBB4_164:                              ;   in Loop: Header=BB4_122 Depth=1
	s_or_b32 exec_lo, exec_lo, s14
.LBB4_165:                              ;   in Loop: Header=BB4_122 Depth=1
	s_delay_alu instid0(SALU_CYCLE_1) | instskip(NEXT) | instid1(SALU_CYCLE_1)
	s_or_b32 exec_lo, exec_lo, s11
	s_or_b32 exec_lo, exec_lo, s10
	s_and_saveexec_b32 s10, s6
	s_delay_alu instid0(SALU_CYCLE_1)
	s_xor_b32 s10, exec_lo, s10
	s_cbranch_execz .LBB4_129
.LBB4_166:                              ;   in Loop: Header=BB4_122 Depth=1
	s_mov_b32 s11, exec_lo
	s_wait_loadcnt 0x0
	v_cmpx_eq_u32_e64 v85, v83
	s_cbranch_execz .LBB4_168
; %bb.167:                              ;   in Loop: Header=BB4_122 Depth=1
	global_load_b64 v[70:71], v[28:29], off
	v_add_nc_u32_e32 v86, 1, v86
	s_wait_loadcnt 0x0
	v_div_scale_f64 v[72:73], null, v[10:11], v[10:11], v[70:71]
	s_delay_alu instid0(VALU_DEP_1) | instskip(SKIP_1) | instid1(TRANS32_DEP_1)
	v_rcp_f64_e32 v[74:75], v[72:73]
	v_nop
	v_fma_f64 v[88:89], -v[72:73], v[74:75], 1.0
	s_delay_alu instid0(VALU_DEP_1) | instskip(NEXT) | instid1(VALU_DEP_1)
	v_fmac_f64_e32 v[74:75], v[74:75], v[88:89]
	v_fma_f64 v[88:89], -v[72:73], v[74:75], 1.0
	s_delay_alu instid0(VALU_DEP_1) | instskip(SKIP_1) | instid1(VALU_DEP_1)
	v_fmac_f64_e32 v[74:75], v[74:75], v[88:89]
	v_div_scale_f64 v[88:89], vcc_lo, v[70:71], v[10:11], v[70:71]
	v_mul_f64_e32 v[90:91], v[88:89], v[74:75]
	s_delay_alu instid0(VALU_DEP_1) | instskip(NEXT) | instid1(VALU_DEP_1)
	v_fma_f64 v[72:73], -v[72:73], v[90:91], v[88:89]
	v_div_fmas_f64 v[72:73], v[72:73], v[74:75], v[90:91]
	s_delay_alu instid0(VALU_DEP_1) | instskip(NEXT) | instid1(VALU_DEP_1)
	v_div_fixup_f64 v[70:71], v[72:73], v[10:11], v[70:71]
	v_add_f64_e32 v[68:69], v[68:69], v[70:71]
.LBB4_168:                              ;   in Loop: Header=BB4_122 Depth=1
	s_wait_xcnt 0x0
	s_or_b32 exec_lo, exec_lo, s11
	s_and_not1_saveexec_b32 s10, s10
	s_cbranch_execz .LBB4_178
.LBB4_169:                              ;   in Loop: Header=BB4_122 Depth=1
	s_clause 0x1
	global_load_b32 v70, v[40:41], off
	global_load_b32 v21, v[60:61], off
	s_mov_b32 s11, exec_lo
	s_wait_loadcnt 0x0
	v_cmpx_lt_i32_e64 v70, v21
	s_cbranch_execz .LBB4_177
; %bb.170:                              ;   in Loop: Header=BB4_122 Depth=1
	v_ashrrev_i32_e32 v71, 31, v70
	s_mov_b32 s15, 0
                                        ; implicit-def: $sgpr14
                                        ; implicit-def: $sgpr20
                                        ; implicit-def: $sgpr19
	s_delay_alu instid0(VALU_DEP_1)
	v_lshl_add_u64 v[72:73], v[70:71], 2, s[8:9]
	s_branch .LBB4_172
.LBB4_171:                              ;   in Loop: Header=BB4_172 Depth=2
	s_or_b32 exec_lo, exec_lo, s21
	s_delay_alu instid0(SALU_CYCLE_1) | instskip(NEXT) | instid1(SALU_CYCLE_1)
	s_and_b32 s21, exec_lo, s20
	s_or_b32 s15, s21, s15
	s_and_not1_b32 s14, s14, exec_lo
	s_and_b32 s21, s19, exec_lo
	s_delay_alu instid0(SALU_CYCLE_1)
	s_or_b32 s14, s14, s21
	s_and_not1_b32 exec_lo, exec_lo, s15
	s_cbranch_execz .LBB4_174
.LBB4_172:                              ;   Parent Loop BB4_122 Depth=1
                                        ; =>  This Inner Loop Header: Depth=2
	global_load_b32 v87, v[72:73], off
	v_mov_b64_e32 v[74:75], v[70:71]
	s_or_b32 s19, s19, exec_lo
	s_or_b32 s20, s20, exec_lo
	s_mov_b32 s21, exec_lo
                                        ; implicit-def: $vgpr70_vgpr71
	s_wait_loadcnt 0x0
	v_cmpx_ne_u32_e64 v87, v85
	s_cbranch_execz .LBB4_171
; %bb.173:                              ;   in Loop: Header=BB4_172 Depth=2
	v_add_nc_u64_e32 v[70:71], 1, v[74:75]
	v_add_nc_u64_e32 v[72:73], 4, v[72:73]
	s_and_not1_b32 s20, s20, exec_lo
	s_and_not1_b32 s19, s19, exec_lo
	s_delay_alu instid0(VALU_DEP_2) | instskip(SKIP_1) | instid1(SALU_CYCLE_1)
	v_cmp_ge_i32_e32 vcc_lo, v70, v21
	s_and_b32 s22, vcc_lo, exec_lo
	s_or_b32 s20, s20, s22
	s_branch .LBB4_171
.LBB4_174:                              ;   in Loop: Header=BB4_122 Depth=1
	s_or_b32 exec_lo, exec_lo, s15
	s_and_saveexec_b32 s15, s14
	s_delay_alu instid0(SALU_CYCLE_1)
	s_xor_b32 s14, exec_lo, s15
	s_cbranch_execz .LBB4_176
; %bb.175:                              ;   in Loop: Header=BB4_122 Depth=1
	v_lshl_add_u64 v[70:71], v[74:75], 3, s[12:13]
	v_add_nc_u32_e32 v86, 1, v86
	global_load_b64 v[70:71], v[70:71], off
	s_wait_loadcnt 0x0
	v_div_scale_f64 v[72:73], null, v[10:11], v[10:11], v[70:71]
	s_delay_alu instid0(VALU_DEP_1) | instskip(SKIP_1) | instid1(TRANS32_DEP_1)
	v_rcp_f64_e32 v[74:75], v[72:73]
	v_nop
	v_fma_f64 v[88:89], -v[72:73], v[74:75], 1.0
	s_delay_alu instid0(VALU_DEP_1) | instskip(NEXT) | instid1(VALU_DEP_1)
	v_fmac_f64_e32 v[74:75], v[74:75], v[88:89]
	v_fma_f64 v[88:89], -v[72:73], v[74:75], 1.0
	s_delay_alu instid0(VALU_DEP_1) | instskip(SKIP_1) | instid1(VALU_DEP_1)
	v_fmac_f64_e32 v[74:75], v[74:75], v[88:89]
	v_div_scale_f64 v[88:89], vcc_lo, v[70:71], v[10:11], v[70:71]
	v_mul_f64_e32 v[90:91], v[88:89], v[74:75]
	s_delay_alu instid0(VALU_DEP_1) | instskip(NEXT) | instid1(VALU_DEP_1)
	v_fma_f64 v[72:73], -v[72:73], v[90:91], v[88:89]
	v_div_fmas_f64 v[72:73], v[72:73], v[74:75], v[90:91]
	s_wait_xcnt 0x0
	s_delay_alu instid0(VALU_DEP_1) | instskip(NEXT) | instid1(VALU_DEP_1)
	v_div_fixup_f64 v[70:71], v[72:73], v[10:11], v[70:71]
	v_add_f64_e32 v[68:69], v[68:69], v[70:71]
.LBB4_176:                              ;   in Loop: Header=BB4_122 Depth=1
	s_or_b32 exec_lo, exec_lo, s14
.LBB4_177:                              ;   in Loop: Header=BB4_122 Depth=1
	s_delay_alu instid0(SALU_CYCLE_1)
	s_or_b32 exec_lo, exec_lo, s11
.LBB4_178:                              ;   in Loop: Header=BB4_122 Depth=1
	s_delay_alu instid0(SALU_CYCLE_1)
	s_or_b32 exec_lo, exec_lo, s10
	v_mov_b64_e32 v[70:71], v[66:67]
	v_mov_b64_e32 v[74:75], v[32:33]
	v_ashrrev_i32_e32 v21, 31, v20
	s_mov_b32 s11, 0
                                        ; implicit-def: $sgpr10
                                        ; implicit-def: $sgpr15
                                        ; implicit-def: $sgpr14
	s_branch .LBB4_180
.LBB4_179:                              ;   in Loop: Header=BB4_180 Depth=2
	s_or_b32 exec_lo, exec_lo, s19
	s_delay_alu instid0(SALU_CYCLE_1) | instskip(NEXT) | instid1(SALU_CYCLE_1)
	s_and_b32 s19, exec_lo, s15
	s_or_b32 s11, s19, s11
	s_and_not1_b32 s10, s10, exec_lo
	s_and_b32 s19, s14, exec_lo
	s_delay_alu instid0(SALU_CYCLE_1)
	s_or_b32 s10, s10, s19
	s_and_not1_b32 exec_lo, exec_lo, s11
	s_cbranch_execz .LBB4_182
.LBB4_180:                              ;   Parent Loop BB4_122 Depth=1
                                        ; =>  This Inner Loop Header: Depth=2
	global_load_b32 v87, v[70:71], off
	v_mov_b64_e32 v[72:73], v[74:75]
	s_or_b32 s14, s14, exec_lo
	s_or_b32 s15, s15, exec_lo
	s_mov_b32 s19, exec_lo
                                        ; implicit-def: $vgpr74_vgpr75
	s_wait_loadcnt 0x0
	v_cmpx_ne_u32_e64 v87, v85
	s_cbranch_execz .LBB4_179
; %bb.181:                              ;   in Loop: Header=BB4_180 Depth=2
	v_add_nc_u64_e32 v[74:75], 1, v[72:73]
	v_add_nc_u64_e32 v[70:71], 4, v[70:71]
	s_and_not1_b32 s15, s15, exec_lo
	s_and_not1_b32 s14, s14, exec_lo
	s_delay_alu instid0(VALU_DEP_2) | instskip(SKIP_1) | instid1(SALU_CYCLE_1)
	v_cmp_ge_i32_e32 vcc_lo, v74, v76
	s_and_b32 s20, vcc_lo, exec_lo
	s_or_b32 s15, s15, s20
	s_branch .LBB4_179
.LBB4_182:                              ;   in Loop: Header=BB4_122 Depth=1
	s_or_b32 exec_lo, exec_lo, s11
	s_and_saveexec_b32 s11, s10
	s_delay_alu instid0(SALU_CYCLE_1)
	s_xor_b32 s10, exec_lo, s11
	s_cbranch_execnz .LBB4_191
; %bb.183:                              ;   in Loop: Header=BB4_122 Depth=1
	s_or_b32 exec_lo, exec_lo, s10
	s_and_saveexec_b32 s10, s0
	s_delay_alu instid0(SALU_CYCLE_1)
	s_xor_b32 s10, exec_lo, s10
	s_cbranch_execnz .LBB4_192
.LBB4_184:                              ;   in Loop: Header=BB4_122 Depth=1
	s_and_not1_saveexec_b32 s10, s10
	s_cbranch_execnz .LBB4_195
.LBB4_185:                              ;   in Loop: Header=BB4_122 Depth=1
	s_or_b32 exec_lo, exec_lo, s10
	s_and_saveexec_b32 s10, s7
	s_delay_alu instid0(SALU_CYCLE_1)
	s_xor_b32 s10, exec_lo, s10
	s_cbranch_execnz .LBB4_204
.LBB4_186:                              ;   in Loop: Header=BB4_122 Depth=1
	s_and_not1_saveexec_b32 s10, s10
	s_cbranch_execnz .LBB4_207
.LBB4_187:                              ;   in Loop: Header=BB4_122 Depth=1
	s_or_b32 exec_lo, exec_lo, s10
	s_and_saveexec_b32 s10, s1
	s_delay_alu instid0(SALU_CYCLE_1)
	s_xor_b32 s10, exec_lo, s10
	s_cbranch_execnz .LBB4_216
.LBB4_188:                              ;   in Loop: Header=BB4_122 Depth=1
	s_and_not1_saveexec_b32 s10, s10
	s_cbranch_execnz .LBB4_219
.LBB4_189:                              ;   in Loop: Header=BB4_122 Depth=1
	s_or_b32 exec_lo, exec_lo, s10
	s_and_saveexec_b32 s10, s2
	s_delay_alu instid0(SALU_CYCLE_1)
	s_xor_b32 s10, exec_lo, s10
	s_cbranch_execnz .LBB4_228
.LBB4_190:                              ;   in Loop: Header=BB4_122 Depth=1
	s_and_not1_saveexec_b32 s10, s10
	s_cbranch_execz .LBB4_121
	s_branch .LBB4_231
.LBB4_191:                              ;   in Loop: Header=BB4_122 Depth=1
	v_lshl_add_u64 v[70:71], v[72:73], 3, s[12:13]
	v_add_nc_u32_e32 v86, 1, v86
	global_load_b64 v[70:71], v[70:71], off
	s_wait_loadcnt 0x0
	v_div_scale_f64 v[72:73], null, v[8:9], v[8:9], v[70:71]
	s_delay_alu instid0(VALU_DEP_1) | instskip(SKIP_1) | instid1(TRANS32_DEP_1)
	v_rcp_f64_e32 v[74:75], v[72:73]
	v_nop
	v_fma_f64 v[88:89], -v[72:73], v[74:75], 1.0
	s_delay_alu instid0(VALU_DEP_1) | instskip(NEXT) | instid1(VALU_DEP_1)
	v_fmac_f64_e32 v[74:75], v[74:75], v[88:89]
	v_fma_f64 v[88:89], -v[72:73], v[74:75], 1.0
	s_delay_alu instid0(VALU_DEP_1) | instskip(SKIP_1) | instid1(VALU_DEP_1)
	v_fmac_f64_e32 v[74:75], v[74:75], v[88:89]
	v_div_scale_f64 v[88:89], vcc_lo, v[70:71], v[8:9], v[70:71]
	v_mul_f64_e32 v[90:91], v[88:89], v[74:75]
	s_delay_alu instid0(VALU_DEP_1) | instskip(NEXT) | instid1(VALU_DEP_1)
	v_fma_f64 v[72:73], -v[72:73], v[90:91], v[88:89]
	v_div_fmas_f64 v[72:73], v[72:73], v[74:75], v[90:91]
	s_wait_xcnt 0x0
	s_delay_alu instid0(VALU_DEP_1) | instskip(NEXT) | instid1(VALU_DEP_1)
	v_div_fixup_f64 v[70:71], v[72:73], v[8:9], v[70:71]
	v_add_f64_e32 v[68:69], v[68:69], v[70:71]
	s_or_b32 exec_lo, exec_lo, s10
	s_and_saveexec_b32 s10, s0
	s_delay_alu instid0(SALU_CYCLE_1)
	s_xor_b32 s10, exec_lo, s10
	s_cbranch_execz .LBB4_184
.LBB4_192:                              ;   in Loop: Header=BB4_122 Depth=1
	s_mov_b32 s11, exec_lo
	v_cmpx_eq_u32_e64 v85, v77
	s_cbranch_execz .LBB4_194
; %bb.193:                              ;   in Loop: Header=BB4_122 Depth=1
	global_load_b64 v[70:71], v[18:19], off offset:8
	v_add_nc_u32_e32 v86, 1, v86
	s_wait_loadcnt 0x0
	v_div_scale_f64 v[72:73], null, v[6:7], v[6:7], v[70:71]
	s_delay_alu instid0(VALU_DEP_1) | instskip(SKIP_1) | instid1(TRANS32_DEP_1)
	v_rcp_f64_e32 v[74:75], v[72:73]
	v_nop
	v_fma_f64 v[88:89], -v[72:73], v[74:75], 1.0
	s_delay_alu instid0(VALU_DEP_1) | instskip(NEXT) | instid1(VALU_DEP_1)
	v_fmac_f64_e32 v[74:75], v[74:75], v[88:89]
	v_fma_f64 v[88:89], -v[72:73], v[74:75], 1.0
	s_delay_alu instid0(VALU_DEP_1) | instskip(SKIP_1) | instid1(VALU_DEP_1)
	v_fmac_f64_e32 v[74:75], v[74:75], v[88:89]
	v_div_scale_f64 v[88:89], vcc_lo, v[70:71], v[6:7], v[70:71]
	v_mul_f64_e32 v[90:91], v[88:89], v[74:75]
	s_delay_alu instid0(VALU_DEP_1) | instskip(NEXT) | instid1(VALU_DEP_1)
	v_fma_f64 v[72:73], -v[72:73], v[90:91], v[88:89]
	v_div_fmas_f64 v[72:73], v[72:73], v[74:75], v[90:91]
	s_delay_alu instid0(VALU_DEP_1) | instskip(NEXT) | instid1(VALU_DEP_1)
	v_div_fixup_f64 v[70:71], v[72:73], v[6:7], v[70:71]
	v_add_f64_e32 v[68:69], v[68:69], v[70:71]
.LBB4_194:                              ;   in Loop: Header=BB4_122 Depth=1
	s_wait_xcnt 0x0
	s_or_b32 exec_lo, exec_lo, s11
	s_and_not1_saveexec_b32 s10, s10
	s_cbranch_execz .LBB4_185
.LBB4_195:                              ;   in Loop: Header=BB4_122 Depth=1
	s_clause 0x1
	global_load_b32 v70, v[42:43], off
	global_load_b32 v87, v[44:45], off
	s_mov_b32 s11, exec_lo
	s_wait_loadcnt 0x0
	v_cmpx_lt_i32_e64 v70, v87
	s_cbranch_execz .LBB4_203
; %bb.196:                              ;   in Loop: Header=BB4_122 Depth=1
	v_ashrrev_i32_e32 v71, 31, v70
	s_mov_b32 s15, 0
                                        ; implicit-def: $sgpr14
                                        ; implicit-def: $sgpr20
                                        ; implicit-def: $sgpr19
	s_delay_alu instid0(VALU_DEP_1)
	v_lshl_add_u64 v[72:73], v[70:71], 2, s[8:9]
	s_branch .LBB4_198
.LBB4_197:                              ;   in Loop: Header=BB4_198 Depth=2
	s_or_b32 exec_lo, exec_lo, s21
	s_delay_alu instid0(SALU_CYCLE_1) | instskip(NEXT) | instid1(SALU_CYCLE_1)
	s_and_b32 s21, exec_lo, s20
	s_or_b32 s15, s21, s15
	s_and_not1_b32 s14, s14, exec_lo
	s_and_b32 s21, s19, exec_lo
	s_delay_alu instid0(SALU_CYCLE_1)
	s_or_b32 s14, s14, s21
	s_and_not1_b32 exec_lo, exec_lo, s15
	s_cbranch_execz .LBB4_200
.LBB4_198:                              ;   Parent Loop BB4_122 Depth=1
                                        ; =>  This Inner Loop Header: Depth=2
	global_load_b32 v88, v[72:73], off
	v_mov_b64_e32 v[74:75], v[70:71]
	s_or_b32 s19, s19, exec_lo
	s_or_b32 s20, s20, exec_lo
	s_mov_b32 s21, exec_lo
                                        ; implicit-def: $vgpr70_vgpr71
	s_wait_loadcnt 0x0
	v_cmpx_ne_u32_e64 v88, v85
	s_cbranch_execz .LBB4_197
; %bb.199:                              ;   in Loop: Header=BB4_198 Depth=2
	v_add_nc_u64_e32 v[70:71], 1, v[74:75]
	v_add_nc_u64_e32 v[72:73], 4, v[72:73]
	s_and_not1_b32 s20, s20, exec_lo
	s_and_not1_b32 s19, s19, exec_lo
	s_delay_alu instid0(VALU_DEP_2) | instskip(SKIP_1) | instid1(SALU_CYCLE_1)
	v_cmp_ge_i32_e32 vcc_lo, v70, v87
	s_and_b32 s22, vcc_lo, exec_lo
	s_or_b32 s20, s20, s22
	s_branch .LBB4_197
.LBB4_200:                              ;   in Loop: Header=BB4_122 Depth=1
	s_or_b32 exec_lo, exec_lo, s15
	s_and_saveexec_b32 s15, s14
	s_delay_alu instid0(SALU_CYCLE_1)
	s_xor_b32 s14, exec_lo, s15
	s_cbranch_execz .LBB4_202
; %bb.201:                              ;   in Loop: Header=BB4_122 Depth=1
	v_lshl_add_u64 v[70:71], v[74:75], 3, s[12:13]
	v_add_nc_u32_e32 v86, 1, v86
	global_load_b64 v[70:71], v[70:71], off
	s_wait_loadcnt 0x0
	v_div_scale_f64 v[72:73], null, v[6:7], v[6:7], v[70:71]
	s_delay_alu instid0(VALU_DEP_1) | instskip(SKIP_1) | instid1(TRANS32_DEP_1)
	v_rcp_f64_e32 v[74:75], v[72:73]
	v_nop
	v_fma_f64 v[88:89], -v[72:73], v[74:75], 1.0
	s_delay_alu instid0(VALU_DEP_1) | instskip(NEXT) | instid1(VALU_DEP_1)
	v_fmac_f64_e32 v[74:75], v[74:75], v[88:89]
	v_fma_f64 v[88:89], -v[72:73], v[74:75], 1.0
	s_delay_alu instid0(VALU_DEP_1) | instskip(SKIP_1) | instid1(VALU_DEP_1)
	v_fmac_f64_e32 v[74:75], v[74:75], v[88:89]
	v_div_scale_f64 v[88:89], vcc_lo, v[70:71], v[6:7], v[70:71]
	v_mul_f64_e32 v[90:91], v[88:89], v[74:75]
	s_delay_alu instid0(VALU_DEP_1) | instskip(NEXT) | instid1(VALU_DEP_1)
	v_fma_f64 v[72:73], -v[72:73], v[90:91], v[88:89]
	v_div_fmas_f64 v[72:73], v[72:73], v[74:75], v[90:91]
	s_wait_xcnt 0x0
	s_delay_alu instid0(VALU_DEP_1) | instskip(NEXT) | instid1(VALU_DEP_1)
	v_div_fixup_f64 v[70:71], v[72:73], v[6:7], v[70:71]
	v_add_f64_e32 v[68:69], v[68:69], v[70:71]
.LBB4_202:                              ;   in Loop: Header=BB4_122 Depth=1
	s_or_b32 exec_lo, exec_lo, s14
.LBB4_203:                              ;   in Loop: Header=BB4_122 Depth=1
	s_delay_alu instid0(SALU_CYCLE_1) | instskip(NEXT) | instid1(SALU_CYCLE_1)
	s_or_b32 exec_lo, exec_lo, s11
	s_or_b32 exec_lo, exec_lo, s10
	s_and_saveexec_b32 s10, s7
	s_delay_alu instid0(SALU_CYCLE_1)
	s_xor_b32 s10, exec_lo, s10
	s_cbranch_execz .LBB4_186
.LBB4_204:                              ;   in Loop: Header=BB4_122 Depth=1
	s_mov_b32 s11, exec_lo
	v_cmpx_eq_u32_e64 v85, v84
	s_cbranch_execz .LBB4_206
; %bb.205:                              ;   in Loop: Header=BB4_122 Depth=1
	global_load_b64 v[70:71], v[30:31], off
	v_add_nc_u32_e32 v86, 1, v86
	s_wait_loadcnt 0x0
	v_div_scale_f64 v[72:73], null, v[4:5], v[4:5], v[70:71]
	s_delay_alu instid0(VALU_DEP_1) | instskip(SKIP_1) | instid1(TRANS32_DEP_1)
	v_rcp_f64_e32 v[74:75], v[72:73]
	v_nop
	v_fma_f64 v[88:89], -v[72:73], v[74:75], 1.0
	s_delay_alu instid0(VALU_DEP_1) | instskip(NEXT) | instid1(VALU_DEP_1)
	v_fmac_f64_e32 v[74:75], v[74:75], v[88:89]
	v_fma_f64 v[88:89], -v[72:73], v[74:75], 1.0
	s_delay_alu instid0(VALU_DEP_1) | instskip(SKIP_1) | instid1(VALU_DEP_1)
	v_fmac_f64_e32 v[74:75], v[74:75], v[88:89]
	v_div_scale_f64 v[88:89], vcc_lo, v[70:71], v[4:5], v[70:71]
	v_mul_f64_e32 v[90:91], v[88:89], v[74:75]
	s_delay_alu instid0(VALU_DEP_1) | instskip(NEXT) | instid1(VALU_DEP_1)
	v_fma_f64 v[72:73], -v[72:73], v[90:91], v[88:89]
	v_div_fmas_f64 v[72:73], v[72:73], v[74:75], v[90:91]
	s_delay_alu instid0(VALU_DEP_1) | instskip(NEXT) | instid1(VALU_DEP_1)
	v_div_fixup_f64 v[70:71], v[72:73], v[4:5], v[70:71]
	v_add_f64_e32 v[68:69], v[68:69], v[70:71]
.LBB4_206:                              ;   in Loop: Header=BB4_122 Depth=1
	s_wait_xcnt 0x0
	s_or_b32 exec_lo, exec_lo, s11
	s_and_not1_saveexec_b32 s10, s10
	s_cbranch_execz .LBB4_187
.LBB4_207:                              ;   in Loop: Header=BB4_122 Depth=1
	s_clause 0x1
	global_load_b32 v70, v[46:47], off
	global_load_b32 v87, v[62:63], off
	s_mov_b32 s11, exec_lo
	s_wait_loadcnt 0x0
	v_cmpx_lt_i32_e64 v70, v87
	s_cbranch_execz .LBB4_215
; %bb.208:                              ;   in Loop: Header=BB4_122 Depth=1
	v_ashrrev_i32_e32 v71, 31, v70
	s_mov_b32 s15, 0
                                        ; implicit-def: $sgpr14
                                        ; implicit-def: $sgpr20
                                        ; implicit-def: $sgpr19
	s_delay_alu instid0(VALU_DEP_1)
	v_lshl_add_u64 v[72:73], v[70:71], 2, s[8:9]
	s_branch .LBB4_210
.LBB4_209:                              ;   in Loop: Header=BB4_210 Depth=2
	s_or_b32 exec_lo, exec_lo, s21
	s_delay_alu instid0(SALU_CYCLE_1) | instskip(NEXT) | instid1(SALU_CYCLE_1)
	s_and_b32 s21, exec_lo, s20
	s_or_b32 s15, s21, s15
	s_and_not1_b32 s14, s14, exec_lo
	s_and_b32 s21, s19, exec_lo
	s_delay_alu instid0(SALU_CYCLE_1)
	s_or_b32 s14, s14, s21
	s_and_not1_b32 exec_lo, exec_lo, s15
	s_cbranch_execz .LBB4_212
.LBB4_210:                              ;   Parent Loop BB4_122 Depth=1
                                        ; =>  This Inner Loop Header: Depth=2
	global_load_b32 v88, v[72:73], off
	v_mov_b64_e32 v[74:75], v[70:71]
	s_or_b32 s19, s19, exec_lo
	s_or_b32 s20, s20, exec_lo
	s_mov_b32 s21, exec_lo
                                        ; implicit-def: $vgpr70_vgpr71
	s_wait_loadcnt 0x0
	v_cmpx_ne_u32_e64 v88, v85
	s_cbranch_execz .LBB4_209
; %bb.211:                              ;   in Loop: Header=BB4_210 Depth=2
	v_add_nc_u64_e32 v[70:71], 1, v[74:75]
	v_add_nc_u64_e32 v[72:73], 4, v[72:73]
	s_and_not1_b32 s20, s20, exec_lo
	s_and_not1_b32 s19, s19, exec_lo
	s_delay_alu instid0(VALU_DEP_2) | instskip(SKIP_1) | instid1(SALU_CYCLE_1)
	v_cmp_ge_i32_e32 vcc_lo, v70, v87
	s_and_b32 s22, vcc_lo, exec_lo
	s_or_b32 s20, s20, s22
	s_branch .LBB4_209
.LBB4_212:                              ;   in Loop: Header=BB4_122 Depth=1
	s_or_b32 exec_lo, exec_lo, s15
	s_and_saveexec_b32 s15, s14
	s_delay_alu instid0(SALU_CYCLE_1)
	s_xor_b32 s14, exec_lo, s15
	s_cbranch_execz .LBB4_214
; %bb.213:                              ;   in Loop: Header=BB4_122 Depth=1
	v_lshl_add_u64 v[70:71], v[74:75], 3, s[12:13]
	v_add_nc_u32_e32 v86, 1, v86
	global_load_b64 v[70:71], v[70:71], off
	s_wait_loadcnt 0x0
	v_div_scale_f64 v[72:73], null, v[4:5], v[4:5], v[70:71]
	s_delay_alu instid0(VALU_DEP_1) | instskip(SKIP_1) | instid1(TRANS32_DEP_1)
	v_rcp_f64_e32 v[74:75], v[72:73]
	v_nop
	v_fma_f64 v[88:89], -v[72:73], v[74:75], 1.0
	s_delay_alu instid0(VALU_DEP_1) | instskip(NEXT) | instid1(VALU_DEP_1)
	v_fmac_f64_e32 v[74:75], v[74:75], v[88:89]
	v_fma_f64 v[88:89], -v[72:73], v[74:75], 1.0
	s_delay_alu instid0(VALU_DEP_1) | instskip(SKIP_1) | instid1(VALU_DEP_1)
	v_fmac_f64_e32 v[74:75], v[74:75], v[88:89]
	v_div_scale_f64 v[88:89], vcc_lo, v[70:71], v[4:5], v[70:71]
	v_mul_f64_e32 v[90:91], v[88:89], v[74:75]
	s_delay_alu instid0(VALU_DEP_1) | instskip(NEXT) | instid1(VALU_DEP_1)
	v_fma_f64 v[72:73], -v[72:73], v[90:91], v[88:89]
	v_div_fmas_f64 v[72:73], v[72:73], v[74:75], v[90:91]
	s_wait_xcnt 0x0
	s_delay_alu instid0(VALU_DEP_1) | instskip(NEXT) | instid1(VALU_DEP_1)
	v_div_fixup_f64 v[70:71], v[72:73], v[4:5], v[70:71]
	v_add_f64_e32 v[68:69], v[68:69], v[70:71]
.LBB4_214:                              ;   in Loop: Header=BB4_122 Depth=1
	s_or_b32 exec_lo, exec_lo, s14
.LBB4_215:                              ;   in Loop: Header=BB4_122 Depth=1
	s_delay_alu instid0(SALU_CYCLE_1) | instskip(NEXT) | instid1(SALU_CYCLE_1)
	s_or_b32 exec_lo, exec_lo, s11
	s_or_b32 exec_lo, exec_lo, s10
	s_and_saveexec_b32 s10, s1
	s_delay_alu instid0(SALU_CYCLE_1)
	s_xor_b32 s10, exec_lo, s10
	s_cbranch_execz .LBB4_188
.LBB4_216:                              ;   in Loop: Header=BB4_122 Depth=1
	s_mov_b32 s11, exec_lo
	v_cmpx_eq_u32_e64 v85, v78
	s_cbranch_execz .LBB4_218
; %bb.217:                              ;   in Loop: Header=BB4_122 Depth=1
	global_load_b64 v[70:71], v[22:23], off
	v_add_nc_u32_e32 v86, 1, v86
	s_wait_loadcnt 0x0
	v_div_scale_f64 v[72:73], null, v[2:3], v[2:3], v[70:71]
	s_delay_alu instid0(VALU_DEP_1) | instskip(SKIP_1) | instid1(TRANS32_DEP_1)
	v_rcp_f64_e32 v[74:75], v[72:73]
	v_nop
	v_fma_f64 v[88:89], -v[72:73], v[74:75], 1.0
	s_delay_alu instid0(VALU_DEP_1) | instskip(NEXT) | instid1(VALU_DEP_1)
	v_fmac_f64_e32 v[74:75], v[74:75], v[88:89]
	v_fma_f64 v[88:89], -v[72:73], v[74:75], 1.0
	s_delay_alu instid0(VALU_DEP_1) | instskip(SKIP_1) | instid1(VALU_DEP_1)
	v_fmac_f64_e32 v[74:75], v[74:75], v[88:89]
	v_div_scale_f64 v[88:89], vcc_lo, v[70:71], v[2:3], v[70:71]
	v_mul_f64_e32 v[90:91], v[88:89], v[74:75]
	s_delay_alu instid0(VALU_DEP_1) | instskip(NEXT) | instid1(VALU_DEP_1)
	v_fma_f64 v[72:73], -v[72:73], v[90:91], v[88:89]
	v_div_fmas_f64 v[72:73], v[72:73], v[74:75], v[90:91]
	s_delay_alu instid0(VALU_DEP_1) | instskip(NEXT) | instid1(VALU_DEP_1)
	v_div_fixup_f64 v[70:71], v[72:73], v[2:3], v[70:71]
	v_add_f64_e32 v[68:69], v[68:69], v[70:71]
.LBB4_218:                              ;   in Loop: Header=BB4_122 Depth=1
	s_wait_xcnt 0x0
	s_or_b32 exec_lo, exec_lo, s11
	s_and_not1_saveexec_b32 s10, s10
	s_cbranch_execz .LBB4_189
.LBB4_219:                              ;   in Loop: Header=BB4_122 Depth=1
	s_clause 0x1
	global_load_b32 v70, v[54:55], off
	global_load_b32 v87, v[48:49], off
	s_mov_b32 s11, exec_lo
	s_wait_loadcnt 0x0
	v_cmpx_lt_i32_e64 v70, v87
	s_cbranch_execz .LBB4_227
; %bb.220:                              ;   in Loop: Header=BB4_122 Depth=1
	v_ashrrev_i32_e32 v71, 31, v70
	s_mov_b32 s15, 0
                                        ; implicit-def: $sgpr14
                                        ; implicit-def: $sgpr20
                                        ; implicit-def: $sgpr19
	s_delay_alu instid0(VALU_DEP_1)
	v_lshl_add_u64 v[72:73], v[70:71], 2, s[8:9]
	s_branch .LBB4_222
.LBB4_221:                              ;   in Loop: Header=BB4_222 Depth=2
	s_or_b32 exec_lo, exec_lo, s21
	s_delay_alu instid0(SALU_CYCLE_1) | instskip(NEXT) | instid1(SALU_CYCLE_1)
	s_and_b32 s21, exec_lo, s20
	s_or_b32 s15, s21, s15
	s_and_not1_b32 s14, s14, exec_lo
	s_and_b32 s21, s19, exec_lo
	s_delay_alu instid0(SALU_CYCLE_1)
	s_or_b32 s14, s14, s21
	s_and_not1_b32 exec_lo, exec_lo, s15
	s_cbranch_execz .LBB4_224
.LBB4_222:                              ;   Parent Loop BB4_122 Depth=1
                                        ; =>  This Inner Loop Header: Depth=2
	global_load_b32 v88, v[72:73], off
	v_mov_b64_e32 v[74:75], v[70:71]
	s_or_b32 s19, s19, exec_lo
	s_or_b32 s20, s20, exec_lo
	s_mov_b32 s21, exec_lo
                                        ; implicit-def: $vgpr70_vgpr71
	s_wait_loadcnt 0x0
	v_cmpx_ne_u32_e64 v88, v85
	s_cbranch_execz .LBB4_221
; %bb.223:                              ;   in Loop: Header=BB4_222 Depth=2
	v_add_nc_u64_e32 v[70:71], 1, v[74:75]
	v_add_nc_u64_e32 v[72:73], 4, v[72:73]
	s_and_not1_b32 s20, s20, exec_lo
	s_and_not1_b32 s19, s19, exec_lo
	s_delay_alu instid0(VALU_DEP_2) | instskip(SKIP_1) | instid1(SALU_CYCLE_1)
	v_cmp_ge_i32_e32 vcc_lo, v70, v87
	s_and_b32 s22, vcc_lo, exec_lo
	s_or_b32 s20, s20, s22
	s_branch .LBB4_221
.LBB4_224:                              ;   in Loop: Header=BB4_122 Depth=1
	s_or_b32 exec_lo, exec_lo, s15
	s_and_saveexec_b32 s15, s14
	s_delay_alu instid0(SALU_CYCLE_1)
	s_xor_b32 s14, exec_lo, s15
	s_cbranch_execz .LBB4_226
; %bb.225:                              ;   in Loop: Header=BB4_122 Depth=1
	v_lshl_add_u64 v[70:71], v[74:75], 3, s[12:13]
	v_add_nc_u32_e32 v86, 1, v86
	global_load_b64 v[70:71], v[70:71], off
	s_wait_loadcnt 0x0
	v_div_scale_f64 v[72:73], null, v[2:3], v[2:3], v[70:71]
	s_delay_alu instid0(VALU_DEP_1) | instskip(SKIP_1) | instid1(TRANS32_DEP_1)
	v_rcp_f64_e32 v[74:75], v[72:73]
	v_nop
	v_fma_f64 v[88:89], -v[72:73], v[74:75], 1.0
	s_delay_alu instid0(VALU_DEP_1) | instskip(NEXT) | instid1(VALU_DEP_1)
	v_fmac_f64_e32 v[74:75], v[74:75], v[88:89]
	v_fma_f64 v[88:89], -v[72:73], v[74:75], 1.0
	s_delay_alu instid0(VALU_DEP_1) | instskip(SKIP_1) | instid1(VALU_DEP_1)
	v_fmac_f64_e32 v[74:75], v[74:75], v[88:89]
	v_div_scale_f64 v[88:89], vcc_lo, v[70:71], v[2:3], v[70:71]
	v_mul_f64_e32 v[90:91], v[88:89], v[74:75]
	s_delay_alu instid0(VALU_DEP_1) | instskip(NEXT) | instid1(VALU_DEP_1)
	v_fma_f64 v[72:73], -v[72:73], v[90:91], v[88:89]
	v_div_fmas_f64 v[72:73], v[72:73], v[74:75], v[90:91]
	s_wait_xcnt 0x0
	s_delay_alu instid0(VALU_DEP_1) | instskip(NEXT) | instid1(VALU_DEP_1)
	v_div_fixup_f64 v[70:71], v[72:73], v[2:3], v[70:71]
	v_add_f64_e32 v[68:69], v[68:69], v[70:71]
.LBB4_226:                              ;   in Loop: Header=BB4_122 Depth=1
	s_or_b32 exec_lo, exec_lo, s14
.LBB4_227:                              ;   in Loop: Header=BB4_122 Depth=1
	s_delay_alu instid0(SALU_CYCLE_1) | instskip(NEXT) | instid1(SALU_CYCLE_1)
	s_or_b32 exec_lo, exec_lo, s11
	s_or_b32 exec_lo, exec_lo, s10
	s_and_saveexec_b32 s10, s2
	s_delay_alu instid0(SALU_CYCLE_1)
	s_xor_b32 s10, exec_lo, s10
	s_cbranch_execz .LBB4_190
.LBB4_228:                              ;   in Loop: Header=BB4_122 Depth=1
	s_mov_b32 s11, exec_lo
	v_cmpx_eq_u32_e64 v85, v79
	s_cbranch_execz .LBB4_230
; %bb.229:                              ;   in Loop: Header=BB4_122 Depth=1
	global_load_b64 v[70:71], v[22:23], off offset:8
	v_add_nc_u32_e32 v86, 1, v86
	s_wait_loadcnt 0x0
	v_div_scale_f64 v[72:73], null, v[0:1], v[0:1], v[70:71]
	s_delay_alu instid0(VALU_DEP_1) | instskip(SKIP_1) | instid1(TRANS32_DEP_1)
	v_rcp_f64_e32 v[74:75], v[72:73]
	v_nop
	v_fma_f64 v[88:89], -v[72:73], v[74:75], 1.0
	s_delay_alu instid0(VALU_DEP_1) | instskip(NEXT) | instid1(VALU_DEP_1)
	v_fmac_f64_e32 v[74:75], v[74:75], v[88:89]
	v_fma_f64 v[88:89], -v[72:73], v[74:75], 1.0
	s_delay_alu instid0(VALU_DEP_1) | instskip(SKIP_1) | instid1(VALU_DEP_1)
	v_fmac_f64_e32 v[74:75], v[74:75], v[88:89]
	v_div_scale_f64 v[88:89], vcc_lo, v[70:71], v[0:1], v[70:71]
	v_mul_f64_e32 v[90:91], v[88:89], v[74:75]
	s_delay_alu instid0(VALU_DEP_1) | instskip(NEXT) | instid1(VALU_DEP_1)
	v_fma_f64 v[72:73], -v[72:73], v[90:91], v[88:89]
	v_div_fmas_f64 v[72:73], v[72:73], v[74:75], v[90:91]
	s_delay_alu instid0(VALU_DEP_1) | instskip(NEXT) | instid1(VALU_DEP_1)
	v_div_fixup_f64 v[70:71], v[72:73], v[0:1], v[70:71]
	v_add_f64_e32 v[68:69], v[68:69], v[70:71]
.LBB4_230:                              ;   in Loop: Header=BB4_122 Depth=1
	s_wait_xcnt 0x0
	s_or_b32 exec_lo, exec_lo, s11
                                        ; implicit-def: $vgpr85
	s_and_not1_saveexec_b32 s10, s10
	s_cbranch_execz .LBB4_121
.LBB4_231:                              ;   in Loop: Header=BB4_122 Depth=1
	s_clause 0x1
	global_load_b32 v70, v[64:65], off
	global_load_b32 v87, v[50:51], off
	s_mov_b32 s11, exec_lo
	s_wait_loadcnt 0x0
	v_cmpx_lt_i32_e64 v70, v87
	s_cbranch_execz .LBB4_120
; %bb.232:                              ;   in Loop: Header=BB4_122 Depth=1
	v_ashrrev_i32_e32 v71, 31, v70
	s_mov_b32 s15, 0
                                        ; implicit-def: $sgpr14
                                        ; implicit-def: $sgpr20
                                        ; implicit-def: $sgpr19
	s_delay_alu instid0(VALU_DEP_1)
	v_lshl_add_u64 v[72:73], v[70:71], 2, s[8:9]
	s_branch .LBB4_234
.LBB4_233:                              ;   in Loop: Header=BB4_234 Depth=2
	s_or_b32 exec_lo, exec_lo, s21
	s_delay_alu instid0(SALU_CYCLE_1) | instskip(NEXT) | instid1(SALU_CYCLE_1)
	s_and_b32 s21, exec_lo, s20
	s_or_b32 s15, s21, s15
	s_and_not1_b32 s14, s14, exec_lo
	s_and_b32 s21, s19, exec_lo
	s_delay_alu instid0(SALU_CYCLE_1)
	s_or_b32 s14, s14, s21
	s_and_not1_b32 exec_lo, exec_lo, s15
	s_cbranch_execz .LBB4_236
.LBB4_234:                              ;   Parent Loop BB4_122 Depth=1
                                        ; =>  This Inner Loop Header: Depth=2
	global_load_b32 v88, v[72:73], off
	v_mov_b64_e32 v[74:75], v[70:71]
	s_or_b32 s19, s19, exec_lo
	s_or_b32 s20, s20, exec_lo
	s_mov_b32 s21, exec_lo
                                        ; implicit-def: $vgpr70_vgpr71
	s_wait_loadcnt 0x0
	v_cmpx_ne_u32_e64 v88, v85
	s_cbranch_execz .LBB4_233
; %bb.235:                              ;   in Loop: Header=BB4_234 Depth=2
	v_add_nc_u64_e32 v[70:71], 1, v[74:75]
	v_add_nc_u64_e32 v[72:73], 4, v[72:73]
	s_and_not1_b32 s20, s20, exec_lo
	s_and_not1_b32 s19, s19, exec_lo
	s_delay_alu instid0(VALU_DEP_2) | instskip(SKIP_1) | instid1(SALU_CYCLE_1)
	v_cmp_ge_i32_e32 vcc_lo, v70, v87
	s_and_b32 s22, vcc_lo, exec_lo
	s_or_b32 s20, s20, s22
	s_branch .LBB4_233
.LBB4_236:                              ;   in Loop: Header=BB4_122 Depth=1
	s_or_b32 exec_lo, exec_lo, s15
	s_and_saveexec_b32 s15, s14
	s_delay_alu instid0(SALU_CYCLE_1)
	s_xor_b32 s14, exec_lo, s15
	s_cbranch_execz .LBB4_119
; %bb.237:                              ;   in Loop: Header=BB4_122 Depth=1
	v_lshl_add_u64 v[70:71], v[74:75], 3, s[12:13]
	v_add_nc_u32_e32 v86, 1, v86
	global_load_b64 v[70:71], v[70:71], off
	s_wait_loadcnt 0x0
	v_div_scale_f64 v[72:73], null, v[0:1], v[0:1], v[70:71]
	s_delay_alu instid0(VALU_DEP_1) | instskip(SKIP_1) | instid1(TRANS32_DEP_1)
	v_rcp_f64_e32 v[74:75], v[72:73]
	v_nop
	v_fma_f64 v[88:89], -v[72:73], v[74:75], 1.0
	s_delay_alu instid0(VALU_DEP_1) | instskip(NEXT) | instid1(VALU_DEP_1)
	v_fmac_f64_e32 v[74:75], v[74:75], v[88:89]
	v_fma_f64 v[88:89], -v[72:73], v[74:75], 1.0
	s_delay_alu instid0(VALU_DEP_1) | instskip(SKIP_1) | instid1(VALU_DEP_1)
	v_fmac_f64_e32 v[74:75], v[74:75], v[88:89]
	v_div_scale_f64 v[88:89], vcc_lo, v[70:71], v[0:1], v[70:71]
	v_mul_f64_e32 v[90:91], v[88:89], v[74:75]
	s_delay_alu instid0(VALU_DEP_1) | instskip(NEXT) | instid1(VALU_DEP_1)
	v_fma_f64 v[72:73], -v[72:73], v[90:91], v[88:89]
	v_div_fmas_f64 v[72:73], v[72:73], v[74:75], v[90:91]
	s_wait_xcnt 0x0
	s_delay_alu instid0(VALU_DEP_1) | instskip(NEXT) | instid1(VALU_DEP_1)
	v_div_fixup_f64 v[70:71], v[72:73], v[0:1], v[70:71]
	v_add_f64_e32 v[68:69], v[68:69], v[70:71]
	s_branch .LBB4_119
.LBB4_238:
	s_sendmsg sendmsg(MSG_DEALLOC_VGPRS)
	s_endpgm
	.section	.rodata,"a",@progbits
	.p2align	6, 0x0
	.amdhsa_kernel _Z9ccc_loop3PKiS0_S0_PKdS2_PdS3_S2_S2_iiPi
		.amdhsa_group_segment_fixed_size 0
		.amdhsa_private_segment_fixed_size 0
		.amdhsa_kernarg_size 344
		.amdhsa_user_sgpr_count 2
		.amdhsa_user_sgpr_dispatch_ptr 0
		.amdhsa_user_sgpr_queue_ptr 0
		.amdhsa_user_sgpr_kernarg_segment_ptr 1
		.amdhsa_user_sgpr_dispatch_id 0
		.amdhsa_user_sgpr_kernarg_preload_length 0
		.amdhsa_user_sgpr_kernarg_preload_offset 0
		.amdhsa_user_sgpr_private_segment_size 0
		.amdhsa_wavefront_size32 1
		.amdhsa_uses_dynamic_stack 0
		.amdhsa_enable_private_segment 0
		.amdhsa_system_sgpr_workgroup_id_x 1
		.amdhsa_system_sgpr_workgroup_id_y 1
		.amdhsa_system_sgpr_workgroup_id_z 0
		.amdhsa_system_sgpr_workgroup_info 0
		.amdhsa_system_vgpr_workitem_id 1
		.amdhsa_next_free_vgpr 92
		.amdhsa_next_free_sgpr 23
		.amdhsa_named_barrier_count 0
		.amdhsa_reserve_vcc 1
		.amdhsa_float_round_mode_32 0
		.amdhsa_float_round_mode_16_64 0
		.amdhsa_float_denorm_mode_32 3
		.amdhsa_float_denorm_mode_16_64 3
		.amdhsa_fp16_overflow 0
		.amdhsa_memory_ordered 1
		.amdhsa_forward_progress 1
		.amdhsa_inst_pref_size 89
		.amdhsa_round_robin_scheduling 0
		.amdhsa_exception_fp_ieee_invalid_op 0
		.amdhsa_exception_fp_denorm_src 0
		.amdhsa_exception_fp_ieee_div_zero 0
		.amdhsa_exception_fp_ieee_overflow 0
		.amdhsa_exception_fp_ieee_underflow 0
		.amdhsa_exception_fp_ieee_inexact 0
		.amdhsa_exception_int_div_zero 0
	.end_amdhsa_kernel
	.text
.Lfunc_end4:
	.size	_Z9ccc_loop3PKiS0_S0_PKdS2_PdS3_S2_S2_iiPi, .Lfunc_end4-_Z9ccc_loop3PKiS0_S0_PKdS2_PdS3_S2_S2_iiPi
                                        ; -- End function
	.set _Z9ccc_loop3PKiS0_S0_PKdS2_PdS3_S2_S2_iiPi.num_vgpr, 92
	.set _Z9ccc_loop3PKiS0_S0_PKdS2_PdS3_S2_S2_iiPi.num_agpr, 0
	.set _Z9ccc_loop3PKiS0_S0_PKdS2_PdS3_S2_S2_iiPi.numbered_sgpr, 23
	.set _Z9ccc_loop3PKiS0_S0_PKdS2_PdS3_S2_S2_iiPi.num_named_barrier, 0
	.set _Z9ccc_loop3PKiS0_S0_PKdS2_PdS3_S2_S2_iiPi.private_seg_size, 0
	.set _Z9ccc_loop3PKiS0_S0_PKdS2_PdS3_S2_S2_iiPi.uses_vcc, 1
	.set _Z9ccc_loop3PKiS0_S0_PKdS2_PdS3_S2_S2_iiPi.uses_flat_scratch, 0
	.set _Z9ccc_loop3PKiS0_S0_PKdS2_PdS3_S2_S2_iiPi.has_dyn_sized_stack, 0
	.set _Z9ccc_loop3PKiS0_S0_PKdS2_PdS3_S2_S2_iiPi.has_recursion, 0
	.set _Z9ccc_loop3PKiS0_S0_PKdS2_PdS3_S2_S2_iiPi.has_indirect_call, 0
	.section	.AMDGPU.csdata,"",@progbits
; Kernel info:
; codeLenInByte = 11388
; TotalNumSgprs: 25
; NumVgprs: 92
; ScratchSize: 0
; MemoryBound: 0
; FloatMode: 240
; IeeeMode: 1
; LDSByteSize: 0 bytes/workgroup (compile time only)
; SGPRBlocks: 0
; VGPRBlocks: 5
; NumSGPRsForWavesPerEU: 25
; NumVGPRsForWavesPerEU: 92
; NamedBarCnt: 0
; Occupancy: 10
; WaveLimiterHint : 1
; COMPUTE_PGM_RSRC2:SCRATCH_EN: 0
; COMPUTE_PGM_RSRC2:USER_SGPR: 2
; COMPUTE_PGM_RSRC2:TRAP_HANDLER: 0
; COMPUTE_PGM_RSRC2:TGID_X_EN: 1
; COMPUTE_PGM_RSRC2:TGID_Y_EN: 1
; COMPUTE_PGM_RSRC2:TGID_Z_EN: 0
; COMPUTE_PGM_RSRC2:TIDIG_COMP_CNT: 1
	.text
	.p2alignl 7, 3214868480
	.fill 96, 4, 3214868480
	.section	.AMDGPU.gpr_maximums,"",@progbits
	.set amdgpu.max_num_vgpr, 0
	.set amdgpu.max_num_agpr, 0
	.set amdgpu.max_num_sgpr, 0
	.text
	.type	__hip_cuid_9ec718a8cbf6d233,@object ; @__hip_cuid_9ec718a8cbf6d233
	.section	.bss,"aw",@nobits
	.globl	__hip_cuid_9ec718a8cbf6d233
__hip_cuid_9ec718a8cbf6d233:
	.byte	0                               ; 0x0
	.size	__hip_cuid_9ec718a8cbf6d233, 1

	.ident	"AMD clang version 22.0.0git (https://github.com/RadeonOpenCompute/llvm-project roc-7.2.4 26084 f58b06dce1f9c15707c5f808fd002e18c2accf7e)"
	.section	".note.GNU-stack","",@progbits
	.addrsig
	.addrsig_sym __hip_cuid_9ec718a8cbf6d233
	.amdgpu_metadata
---
amdhsa.kernels:
  - .args:
      - .actual_access:  read_only
        .address_space:  global
        .offset:         0
        .size:           8
        .value_kind:     global_buffer
      - .actual_access:  read_only
        .address_space:  global
        .offset:         8
        .size:           8
        .value_kind:     global_buffer
      - .actual_access:  read_only
        .address_space:  global
        .offset:         16
        .size:           8
        .value_kind:     global_buffer
      - .actual_access:  read_only
        .address_space:  global
        .offset:         24
        .size:           8
        .value_kind:     global_buffer
      - .actual_access:  read_only
        .address_space:  global
        .offset:         32
        .size:           8
        .value_kind:     global_buffer
      - .actual_access:  read_only
        .address_space:  global
        .offset:         40
        .size:           8
        .value_kind:     global_buffer
      - .actual_access:  write_only
        .address_space:  global
        .offset:         48
        .size:           8
        .value_kind:     global_buffer
      - .offset:         56
        .size:           4
        .value_kind:     by_value
      - .offset:         60
        .size:           4
        .value_kind:     by_value
      - .actual_access:  read_only
        .address_space:  global
        .offset:         64
        .size:           8
        .value_kind:     global_buffer
      - .offset:         72
        .size:           4
        .value_kind:     hidden_block_count_x
      - .offset:         76
        .size:           4
        .value_kind:     hidden_block_count_y
      - .offset:         80
        .size:           4
        .value_kind:     hidden_block_count_z
      - .offset:         84
        .size:           2
        .value_kind:     hidden_group_size_x
      - .offset:         86
        .size:           2
        .value_kind:     hidden_group_size_y
      - .offset:         88
        .size:           2
        .value_kind:     hidden_group_size_z
      - .offset:         90
        .size:           2
        .value_kind:     hidden_remainder_x
      - .offset:         92
        .size:           2
        .value_kind:     hidden_remainder_y
      - .offset:         94
        .size:           2
        .value_kind:     hidden_remainder_z
      - .offset:         112
        .size:           8
        .value_kind:     hidden_global_offset_x
      - .offset:         120
        .size:           8
        .value_kind:     hidden_global_offset_y
      - .offset:         128
        .size:           8
        .value_kind:     hidden_global_offset_z
      - .offset:         136
        .size:           2
        .value_kind:     hidden_grid_dims
    .group_segment_fixed_size: 0
    .kernarg_segment_align: 8
    .kernarg_segment_size: 328
    .language:       OpenCL C
    .language_version:
      - 2
      - 0
    .max_flat_workgroup_size: 1024
    .name:           _Z9ccc_loop1PKiS0_PKdS2_S2_S2_PdiiPi
    .private_segment_fixed_size: 0
    .sgpr_count:     14
    .sgpr_spill_count: 0
    .symbol:         _Z9ccc_loop1PKiS0_PKdS2_S2_S2_PdiiPi.kd
    .uniform_work_group_size: 1
    .uses_dynamic_stack: false
    .vgpr_count:     13
    .vgpr_spill_count: 0
    .wavefront_size: 32
  - .args:
      - .actual_access:  read_only
        .address_space:  global
        .offset:         0
        .size:           8
        .value_kind:     global_buffer
      - .actual_access:  read_only
        .address_space:  global
        .offset:         8
        .size:           8
        .value_kind:     global_buffer
      - .actual_access:  read_only
        .address_space:  global
        .offset:         16
        .size:           8
        .value_kind:     global_buffer
      - .actual_access:  write_only
        .address_space:  global
        .offset:         24
        .size:           8
        .value_kind:     global_buffer
      - .actual_access:  read_only
        .address_space:  global
        .offset:         32
        .size:           8
        .value_kind:     global_buffer
      - .offset:         40
        .size:           4
        .value_kind:     by_value
      - .actual_access:  read_only
        .address_space:  global
        .offset:         48
        .size:           8
        .value_kind:     global_buffer
      - .actual_access:  read_only
        .address_space:  global
        .offset:         56
        .size:           8
        .value_kind:     global_buffer
      - .offset:         64
        .size:           4
        .value_kind:     by_value
      - .offset:         68
        .size:           4
        .value_kind:     by_value
      - .offset:         72
        .size:           4
        .value_kind:     hidden_block_count_x
      - .offset:         76
        .size:           4
        .value_kind:     hidden_block_count_y
      - .offset:         80
        .size:           4
        .value_kind:     hidden_block_count_z
      - .offset:         84
        .size:           2
        .value_kind:     hidden_group_size_x
      - .offset:         86
        .size:           2
        .value_kind:     hidden_group_size_y
      - .offset:         88
        .size:           2
        .value_kind:     hidden_group_size_z
      - .offset:         90
        .size:           2
        .value_kind:     hidden_remainder_x
      - .offset:         92
        .size:           2
        .value_kind:     hidden_remainder_y
      - .offset:         94
        .size:           2
        .value_kind:     hidden_remainder_z
      - .offset:         112
        .size:           8
        .value_kind:     hidden_global_offset_x
      - .offset:         120
        .size:           8
        .value_kind:     hidden_global_offset_y
      - .offset:         128
        .size:           8
        .value_kind:     hidden_global_offset_z
      - .offset:         136
        .size:           2
        .value_kind:     hidden_grid_dims
    .group_segment_fixed_size: 0
    .kernarg_segment_align: 8
    .kernarg_segment_size: 328
    .language:       OpenCL C
    .language_version:
      - 2
      - 0
    .max_flat_workgroup_size: 1024
    .name:           _Z11ccc_loop1_2PKdS0_S0_PdPKiiS3_S3_ii
    .private_segment_fixed_size: 0
    .sgpr_count:     14
    .sgpr_spill_count: 0
    .symbol:         _Z11ccc_loop1_2PKdS0_S0_PdPKiiS3_S3_ii.kd
    .uniform_work_group_size: 1
    .uses_dynamic_stack: false
    .vgpr_count:     14
    .vgpr_spill_count: 0
    .wavefront_size: 32
  - .args:
      - .actual_access:  read_only
        .address_space:  global
        .offset:         0
        .size:           8
        .value_kind:     global_buffer
      - .actual_access:  read_only
        .address_space:  global
        .offset:         8
        .size:           8
        .value_kind:     global_buffer
      - .actual_access:  read_only
        .address_space:  global
        .offset:         16
        .size:           8
        .value_kind:     global_buffer
      - .actual_access:  read_only
        .address_space:  global
        .offset:         24
        .size:           8
        .value_kind:     global_buffer
      - .actual_access:  read_only
        .address_space:  global
        .offset:         32
        .size:           8
        .value_kind:     global_buffer
      - .actual_access:  read_only
        .address_space:  global
        .offset:         40
        .size:           8
        .value_kind:     global_buffer
      - .actual_access:  read_only
        .address_space:  global
        .offset:         48
        .size:           8
        .value_kind:     global_buffer
      - .actual_access:  read_only
        .address_space:  global
        .offset:         56
        .size:           8
        .value_kind:     global_buffer
      - .actual_access:  read_only
        .address_space:  global
        .offset:         64
        .size:           8
        .value_kind:     global_buffer
      - .actual_access:  write_only
        .address_space:  global
        .offset:         72
        .size:           8
        .value_kind:     global_buffer
      - .actual_access:  read_only
        .address_space:  global
        .offset:         80
        .size:           8
        .value_kind:     global_buffer
      - .offset:         88
        .size:           4
        .value_kind:     by_value
      - .offset:         92
        .size:           4
        .value_kind:     by_value
      - .actual_access:  read_only
        .address_space:  global
        .offset:         96
        .size:           8
        .value_kind:     global_buffer
      - .offset:         104
        .size:           4
        .value_kind:     hidden_block_count_x
      - .offset:         108
        .size:           4
        .value_kind:     hidden_block_count_y
      - .offset:         112
        .size:           4
        .value_kind:     hidden_block_count_z
      - .offset:         116
        .size:           2
        .value_kind:     hidden_group_size_x
      - .offset:         118
        .size:           2
        .value_kind:     hidden_group_size_y
      - .offset:         120
        .size:           2
        .value_kind:     hidden_group_size_z
      - .offset:         122
        .size:           2
        .value_kind:     hidden_remainder_x
      - .offset:         124
        .size:           2
        .value_kind:     hidden_remainder_y
      - .offset:         126
        .size:           2
        .value_kind:     hidden_remainder_z
      - .offset:         144
        .size:           8
        .value_kind:     hidden_global_offset_x
      - .offset:         152
        .size:           8
        .value_kind:     hidden_global_offset_y
      - .offset:         160
        .size:           8
        .value_kind:     hidden_global_offset_z
      - .offset:         168
        .size:           2
        .value_kind:     hidden_grid_dims
    .group_segment_fixed_size: 0
    .kernarg_segment_align: 8
    .kernarg_segment_size: 360
    .language:       OpenCL C
    .language_version:
      - 2
      - 0
    .max_flat_workgroup_size: 1024
    .name:           _Z9ccc_loop2PKiS0_S0_PKdS2_S2_S2_S2_S2_PdS3_iiPi
    .private_segment_fixed_size: 0
    .sgpr_count:     12
    .sgpr_spill_count: 0
    .symbol:         _Z9ccc_loop2PKiS0_S0_PKdS2_S2_S2_S2_S2_PdS3_iiPi.kd
    .uniform_work_group_size: 1
    .uses_dynamic_stack: false
    .vgpr_count:     10
    .vgpr_spill_count: 0
    .wavefront_size: 32
  - .args:
      - .actual_access:  read_only
        .address_space:  global
        .offset:         0
        .size:           8
        .value_kind:     global_buffer
      - .actual_access:  read_only
        .address_space:  global
        .offset:         8
        .size:           8
        .value_kind:     global_buffer
      - .actual_access:  read_only
        .address_space:  global
        .offset:         16
        .size:           8
        .value_kind:     global_buffer
      - .actual_access:  read_only
        .address_space:  global
        .offset:         24
        .size:           8
        .value_kind:     global_buffer
      - .actual_access:  read_only
        .address_space:  global
        .offset:         32
        .size:           8
        .value_kind:     global_buffer
      - .actual_access:  write_only
        .address_space:  global
        .offset:         40
        .size:           8
        .value_kind:     global_buffer
      - .actual_access:  read_only
        .address_space:  global
        .offset:         48
        .size:           8
        .value_kind:     global_buffer
      - .offset:         56
        .size:           4
        .value_kind:     by_value
      - .offset:         64
        .size:           4
        .value_kind:     hidden_block_count_x
      - .offset:         68
        .size:           4
        .value_kind:     hidden_block_count_y
      - .offset:         72
        .size:           4
        .value_kind:     hidden_block_count_z
      - .offset:         76
        .size:           2
        .value_kind:     hidden_group_size_x
      - .offset:         78
        .size:           2
        .value_kind:     hidden_group_size_y
      - .offset:         80
        .size:           2
        .value_kind:     hidden_group_size_z
      - .offset:         82
        .size:           2
        .value_kind:     hidden_remainder_x
      - .offset:         84
        .size:           2
        .value_kind:     hidden_remainder_y
      - .offset:         86
        .size:           2
        .value_kind:     hidden_remainder_z
      - .offset:         104
        .size:           8
        .value_kind:     hidden_global_offset_x
      - .offset:         112
        .size:           8
        .value_kind:     hidden_global_offset_y
      - .offset:         120
        .size:           8
        .value_kind:     hidden_global_offset_z
      - .offset:         128
        .size:           2
        .value_kind:     hidden_grid_dims
    .group_segment_fixed_size: 0
    .kernarg_segment_align: 8
    .kernarg_segment_size: 320
    .language:       OpenCL C
    .language_version:
      - 2
      - 0
    .max_flat_workgroup_size: 1024
    .name:           _Z11ccc_loop2_2PKiPKdS2_S2_S2_PdPii
    .private_segment_fixed_size: 0
    .sgpr_count:     14
    .sgpr_spill_count: 0
    .symbol:         _Z11ccc_loop2_2PKiPKdS2_S2_S2_PdPii.kd
    .uniform_work_group_size: 1
    .uses_dynamic_stack: false
    .vgpr_count:     14
    .vgpr_spill_count: 0
    .wavefront_size: 32
  - .args:
      - .actual_access:  read_only
        .address_space:  global
        .offset:         0
        .size:           8
        .value_kind:     global_buffer
      - .actual_access:  read_only
        .address_space:  global
        .offset:         8
        .size:           8
        .value_kind:     global_buffer
      - .actual_access:  read_only
        .address_space:  global
        .offset:         16
        .size:           8
        .value_kind:     global_buffer
      - .actual_access:  read_only
        .address_space:  global
        .offset:         24
        .size:           8
        .value_kind:     global_buffer
      - .actual_access:  read_only
        .address_space:  global
        .offset:         32
        .size:           8
        .value_kind:     global_buffer
      - .actual_access:  write_only
        .address_space:  global
        .offset:         40
        .size:           8
        .value_kind:     global_buffer
      - .actual_access:  write_only
        .address_space:  global
        .offset:         48
        .size:           8
        .value_kind:     global_buffer
      - .actual_access:  read_only
        .address_space:  global
        .offset:         56
        .size:           8
        .value_kind:     global_buffer
      - .actual_access:  read_only
        .address_space:  global
        .offset:         64
        .size:           8
        .value_kind:     global_buffer
      - .offset:         72
        .size:           4
        .value_kind:     by_value
      - .offset:         76
        .size:           4
        .value_kind:     by_value
      - .actual_access:  read_only
        .address_space:  global
        .offset:         80
        .size:           8
        .value_kind:     global_buffer
      - .offset:         88
        .size:           4
        .value_kind:     hidden_block_count_x
      - .offset:         92
        .size:           4
        .value_kind:     hidden_block_count_y
      - .offset:         96
        .size:           4
        .value_kind:     hidden_block_count_z
      - .offset:         100
        .size:           2
        .value_kind:     hidden_group_size_x
      - .offset:         102
        .size:           2
        .value_kind:     hidden_group_size_y
      - .offset:         104
        .size:           2
        .value_kind:     hidden_group_size_z
      - .offset:         106
        .size:           2
        .value_kind:     hidden_remainder_x
      - .offset:         108
        .size:           2
        .value_kind:     hidden_remainder_y
      - .offset:         110
        .size:           2
        .value_kind:     hidden_remainder_z
      - .offset:         128
        .size:           8
        .value_kind:     hidden_global_offset_x
      - .offset:         136
        .size:           8
        .value_kind:     hidden_global_offset_y
      - .offset:         144
        .size:           8
        .value_kind:     hidden_global_offset_z
      - .offset:         152
        .size:           2
        .value_kind:     hidden_grid_dims
    .group_segment_fixed_size: 0
    .kernarg_segment_align: 8
    .kernarg_segment_size: 344
    .language:       OpenCL C
    .language_version:
      - 2
      - 0
    .max_flat_workgroup_size: 1024
    .name:           _Z9ccc_loop3PKiS0_S0_PKdS2_PdS3_S2_S2_iiPi
    .private_segment_fixed_size: 0
    .sgpr_count:     25
    .sgpr_spill_count: 0
    .symbol:         _Z9ccc_loop3PKiS0_S0_PKdS2_PdS3_S2_S2_iiPi.kd
    .uniform_work_group_size: 1
    .uses_dynamic_stack: false
    .vgpr_count:     92
    .vgpr_spill_count: 0
    .wavefront_size: 32
amdhsa.target:   amdgcn-amd-amdhsa--gfx1250
amdhsa.version:
  - 1
  - 2
...

	.end_amdgpu_metadata
